;; amdgpu-corpus repo=ROCm/rocFFT kind=compiled arch=gfx1201 opt=O3
	.text
	.amdgcn_target "amdgcn-amd-amdhsa--gfx1201"
	.amdhsa_code_object_version 6
	.protected	fft_rtc_back_len1575_factors_3_3_5_7_5_wgs_63_tpt_63_halfLds_dp_ip_CI_unitstride_sbrr_dirReg ; -- Begin function fft_rtc_back_len1575_factors_3_3_5_7_5_wgs_63_tpt_63_halfLds_dp_ip_CI_unitstride_sbrr_dirReg
	.globl	fft_rtc_back_len1575_factors_3_3_5_7_5_wgs_63_tpt_63_halfLds_dp_ip_CI_unitstride_sbrr_dirReg
	.p2align	8
	.type	fft_rtc_back_len1575_factors_3_3_5_7_5_wgs_63_tpt_63_halfLds_dp_ip_CI_unitstride_sbrr_dirReg,@function
fft_rtc_back_len1575_factors_3_3_5_7_5_wgs_63_tpt_63_halfLds_dp_ip_CI_unitstride_sbrr_dirReg: ; @fft_rtc_back_len1575_factors_3_3_5_7_5_wgs_63_tpt_63_halfLds_dp_ip_CI_unitstride_sbrr_dirReg
; %bb.0:
	s_clause 0x2
	s_load_b128 s[4:7], s[0:1], 0x0
	s_load_b64 s[8:9], s[0:1], 0x50
	s_load_b64 s[10:11], s[0:1], 0x18
	v_mul_u32_u24_e32 v1, 0x411, v0
	v_mov_b32_e32 v3, 0
	s_delay_alu instid0(VALU_DEP_2) | instskip(NEXT) | instid1(VALU_DEP_1)
	v_lshrrev_b32_e32 v1, 16, v1
	v_add_nc_u32_e32 v5, ttmp9, v1
	v_mov_b32_e32 v1, 0
	v_mov_b32_e32 v2, 0
	;; [unrolled: 1-line block ×3, first 2 shown]
	s_wait_kmcnt 0x0
	v_cmp_lt_u64_e64 s2, s[6:7], 2
	s_delay_alu instid0(VALU_DEP_1)
	s_and_b32 vcc_lo, exec_lo, s2
	s_cbranch_vccnz .LBB0_8
; %bb.1:
	s_load_b64 s[2:3], s[0:1], 0x10
	v_mov_b32_e32 v1, 0
	v_mov_b32_e32 v2, 0
	s_add_nc_u64 s[12:13], s[10:11], 8
	s_mov_b64 s[14:15], 1
	s_wait_kmcnt 0x0
	s_add_nc_u64 s[16:17], s[2:3], 8
	s_mov_b32 s3, 0
.LBB0_2:                                ; =>This Inner Loop Header: Depth=1
	s_load_b64 s[18:19], s[16:17], 0x0
                                        ; implicit-def: $vgpr7_vgpr8
	s_mov_b32 s2, exec_lo
	s_wait_kmcnt 0x0
	v_or_b32_e32 v4, s19, v6
	s_delay_alu instid0(VALU_DEP_1)
	v_cmpx_ne_u64_e32 0, v[3:4]
	s_wait_alu 0xfffe
	s_xor_b32 s20, exec_lo, s2
	s_cbranch_execz .LBB0_4
; %bb.3:                                ;   in Loop: Header=BB0_2 Depth=1
	s_cvt_f32_u32 s2, s18
	s_cvt_f32_u32 s21, s19
	s_sub_nc_u64 s[24:25], 0, s[18:19]
	s_wait_alu 0xfffe
	s_delay_alu instid0(SALU_CYCLE_1) | instskip(SKIP_1) | instid1(SALU_CYCLE_2)
	s_fmamk_f32 s2, s21, 0x4f800000, s2
	s_wait_alu 0xfffe
	v_s_rcp_f32 s2, s2
	s_delay_alu instid0(TRANS32_DEP_1) | instskip(SKIP_1) | instid1(SALU_CYCLE_2)
	s_mul_f32 s2, s2, 0x5f7ffffc
	s_wait_alu 0xfffe
	s_mul_f32 s21, s2, 0x2f800000
	s_wait_alu 0xfffe
	s_delay_alu instid0(SALU_CYCLE_2) | instskip(SKIP_1) | instid1(SALU_CYCLE_2)
	s_trunc_f32 s21, s21
	s_wait_alu 0xfffe
	s_fmamk_f32 s2, s21, 0xcf800000, s2
	s_cvt_u32_f32 s23, s21
	s_wait_alu 0xfffe
	s_delay_alu instid0(SALU_CYCLE_1) | instskip(SKIP_1) | instid1(SALU_CYCLE_2)
	s_cvt_u32_f32 s22, s2
	s_wait_alu 0xfffe
	s_mul_u64 s[26:27], s[24:25], s[22:23]
	s_wait_alu 0xfffe
	s_mul_hi_u32 s29, s22, s27
	s_mul_i32 s28, s22, s27
	s_mul_hi_u32 s2, s22, s26
	s_mul_i32 s30, s23, s26
	s_wait_alu 0xfffe
	s_add_nc_u64 s[28:29], s[2:3], s[28:29]
	s_mul_hi_u32 s21, s23, s26
	s_mul_hi_u32 s31, s23, s27
	s_add_co_u32 s2, s28, s30
	s_wait_alu 0xfffe
	s_add_co_ci_u32 s2, s29, s21
	s_mul_i32 s26, s23, s27
	s_add_co_ci_u32 s27, s31, 0
	s_wait_alu 0xfffe
	s_add_nc_u64 s[26:27], s[2:3], s[26:27]
	s_wait_alu 0xfffe
	v_add_co_u32 v4, s2, s22, s26
	s_delay_alu instid0(VALU_DEP_1) | instskip(SKIP_1) | instid1(VALU_DEP_1)
	s_cmp_lg_u32 s2, 0
	s_add_co_ci_u32 s23, s23, s27
	v_readfirstlane_b32 s22, v4
	s_wait_alu 0xfffe
	s_delay_alu instid0(VALU_DEP_1)
	s_mul_u64 s[24:25], s[24:25], s[22:23]
	s_wait_alu 0xfffe
	s_mul_hi_u32 s27, s22, s25
	s_mul_i32 s26, s22, s25
	s_mul_hi_u32 s2, s22, s24
	s_mul_i32 s28, s23, s24
	s_wait_alu 0xfffe
	s_add_nc_u64 s[26:27], s[2:3], s[26:27]
	s_mul_hi_u32 s21, s23, s24
	s_mul_hi_u32 s22, s23, s25
	s_wait_alu 0xfffe
	s_add_co_u32 s2, s26, s28
	s_add_co_ci_u32 s2, s27, s21
	s_mul_i32 s24, s23, s25
	s_add_co_ci_u32 s25, s22, 0
	s_wait_alu 0xfffe
	s_add_nc_u64 s[24:25], s[2:3], s[24:25]
	s_wait_alu 0xfffe
	v_add_co_u32 v4, s2, v4, s24
	s_delay_alu instid0(VALU_DEP_1) | instskip(SKIP_1) | instid1(VALU_DEP_1)
	s_cmp_lg_u32 s2, 0
	s_add_co_ci_u32 s2, s23, s25
	v_mul_hi_u32 v13, v5, v4
	s_wait_alu 0xfffe
	v_mad_co_u64_u32 v[7:8], null, v5, s2, 0
	v_mad_co_u64_u32 v[9:10], null, v6, v4, 0
	;; [unrolled: 1-line block ×3, first 2 shown]
	s_delay_alu instid0(VALU_DEP_3) | instskip(SKIP_1) | instid1(VALU_DEP_4)
	v_add_co_u32 v4, vcc_lo, v13, v7
	s_wait_alu 0xfffd
	v_add_co_ci_u32_e32 v7, vcc_lo, 0, v8, vcc_lo
	s_delay_alu instid0(VALU_DEP_2) | instskip(SKIP_1) | instid1(VALU_DEP_2)
	v_add_co_u32 v4, vcc_lo, v4, v9
	s_wait_alu 0xfffd
	v_add_co_ci_u32_e32 v4, vcc_lo, v7, v10, vcc_lo
	s_wait_alu 0xfffd
	v_add_co_ci_u32_e32 v7, vcc_lo, 0, v12, vcc_lo
	s_delay_alu instid0(VALU_DEP_2) | instskip(SKIP_1) | instid1(VALU_DEP_2)
	v_add_co_u32 v4, vcc_lo, v4, v11
	s_wait_alu 0xfffd
	v_add_co_ci_u32_e32 v9, vcc_lo, 0, v7, vcc_lo
	s_delay_alu instid0(VALU_DEP_2) | instskip(SKIP_1) | instid1(VALU_DEP_3)
	v_mul_lo_u32 v10, s19, v4
	v_mad_co_u64_u32 v[7:8], null, s18, v4, 0
	v_mul_lo_u32 v11, s18, v9
	s_delay_alu instid0(VALU_DEP_2) | instskip(NEXT) | instid1(VALU_DEP_2)
	v_sub_co_u32 v7, vcc_lo, v5, v7
	v_add3_u32 v8, v8, v11, v10
	s_delay_alu instid0(VALU_DEP_1) | instskip(SKIP_1) | instid1(VALU_DEP_1)
	v_sub_nc_u32_e32 v10, v6, v8
	s_wait_alu 0xfffd
	v_subrev_co_ci_u32_e64 v10, s2, s19, v10, vcc_lo
	v_add_co_u32 v11, s2, v4, 2
	s_wait_alu 0xf1ff
	v_add_co_ci_u32_e64 v12, s2, 0, v9, s2
	v_sub_co_u32 v13, s2, v7, s18
	v_sub_co_ci_u32_e32 v8, vcc_lo, v6, v8, vcc_lo
	s_wait_alu 0xf1ff
	v_subrev_co_ci_u32_e64 v10, s2, 0, v10, s2
	s_delay_alu instid0(VALU_DEP_3) | instskip(NEXT) | instid1(VALU_DEP_3)
	v_cmp_le_u32_e32 vcc_lo, s18, v13
	v_cmp_eq_u32_e64 s2, s19, v8
	s_wait_alu 0xfffd
	v_cndmask_b32_e64 v13, 0, -1, vcc_lo
	v_cmp_le_u32_e32 vcc_lo, s19, v10
	s_wait_alu 0xfffd
	v_cndmask_b32_e64 v14, 0, -1, vcc_lo
	v_cmp_le_u32_e32 vcc_lo, s18, v7
	;; [unrolled: 3-line block ×3, first 2 shown]
	s_wait_alu 0xfffd
	v_cndmask_b32_e64 v15, 0, -1, vcc_lo
	v_cmp_eq_u32_e32 vcc_lo, s19, v10
	s_wait_alu 0xf1ff
	s_delay_alu instid0(VALU_DEP_2)
	v_cndmask_b32_e64 v7, v15, v7, s2
	s_wait_alu 0xfffd
	v_cndmask_b32_e32 v10, v14, v13, vcc_lo
	v_add_co_u32 v13, vcc_lo, v4, 1
	s_wait_alu 0xfffd
	v_add_co_ci_u32_e32 v14, vcc_lo, 0, v9, vcc_lo
	s_delay_alu instid0(VALU_DEP_3) | instskip(SKIP_2) | instid1(VALU_DEP_3)
	v_cmp_ne_u32_e32 vcc_lo, 0, v10
	s_wait_alu 0xfffd
	v_cndmask_b32_e32 v10, v13, v11, vcc_lo
	v_cndmask_b32_e32 v8, v14, v12, vcc_lo
	v_cmp_ne_u32_e32 vcc_lo, 0, v7
	s_wait_alu 0xfffd
	s_delay_alu instid0(VALU_DEP_2)
	v_dual_cndmask_b32 v7, v4, v10 :: v_dual_cndmask_b32 v8, v9, v8
.LBB0_4:                                ;   in Loop: Header=BB0_2 Depth=1
	s_wait_alu 0xfffe
	s_and_not1_saveexec_b32 s2, s20
	s_cbranch_execz .LBB0_6
; %bb.5:                                ;   in Loop: Header=BB0_2 Depth=1
	v_cvt_f32_u32_e32 v4, s18
	s_sub_co_i32 s20, 0, s18
	s_delay_alu instid0(VALU_DEP_1) | instskip(NEXT) | instid1(TRANS32_DEP_1)
	v_rcp_iflag_f32_e32 v4, v4
	v_mul_f32_e32 v4, 0x4f7ffffe, v4
	s_delay_alu instid0(VALU_DEP_1) | instskip(SKIP_1) | instid1(VALU_DEP_1)
	v_cvt_u32_f32_e32 v4, v4
	s_wait_alu 0xfffe
	v_mul_lo_u32 v7, s20, v4
	s_delay_alu instid0(VALU_DEP_1) | instskip(NEXT) | instid1(VALU_DEP_1)
	v_mul_hi_u32 v7, v4, v7
	v_add_nc_u32_e32 v4, v4, v7
	s_delay_alu instid0(VALU_DEP_1) | instskip(NEXT) | instid1(VALU_DEP_1)
	v_mul_hi_u32 v4, v5, v4
	v_mul_lo_u32 v7, v4, s18
	v_add_nc_u32_e32 v8, 1, v4
	s_delay_alu instid0(VALU_DEP_2) | instskip(NEXT) | instid1(VALU_DEP_1)
	v_sub_nc_u32_e32 v7, v5, v7
	v_subrev_nc_u32_e32 v9, s18, v7
	v_cmp_le_u32_e32 vcc_lo, s18, v7
	s_wait_alu 0xfffd
	s_delay_alu instid0(VALU_DEP_2) | instskip(NEXT) | instid1(VALU_DEP_1)
	v_dual_cndmask_b32 v7, v7, v9 :: v_dual_cndmask_b32 v4, v4, v8
	v_cmp_le_u32_e32 vcc_lo, s18, v7
	s_delay_alu instid0(VALU_DEP_2) | instskip(SKIP_1) | instid1(VALU_DEP_1)
	v_add_nc_u32_e32 v8, 1, v4
	s_wait_alu 0xfffd
	v_dual_cndmask_b32 v7, v4, v8 :: v_dual_mov_b32 v8, v3
.LBB0_6:                                ;   in Loop: Header=BB0_2 Depth=1
	s_wait_alu 0xfffe
	s_or_b32 exec_lo, exec_lo, s2
	s_load_b64 s[20:21], s[12:13], 0x0
	s_delay_alu instid0(VALU_DEP_1)
	v_mul_lo_u32 v4, v8, s18
	v_mul_lo_u32 v11, v7, s19
	v_mad_co_u64_u32 v[9:10], null, v7, s18, 0
	s_add_nc_u64 s[14:15], s[14:15], 1
	s_add_nc_u64 s[12:13], s[12:13], 8
	s_wait_alu 0xfffe
	v_cmp_ge_u64_e64 s2, s[14:15], s[6:7]
	s_add_nc_u64 s[16:17], s[16:17], 8
	s_delay_alu instid0(VALU_DEP_2) | instskip(NEXT) | instid1(VALU_DEP_3)
	v_add3_u32 v4, v10, v11, v4
	v_sub_co_u32 v5, vcc_lo, v5, v9
	s_wait_alu 0xfffd
	s_delay_alu instid0(VALU_DEP_2) | instskip(SKIP_3) | instid1(VALU_DEP_2)
	v_sub_co_ci_u32_e32 v4, vcc_lo, v6, v4, vcc_lo
	s_and_b32 vcc_lo, exec_lo, s2
	s_wait_kmcnt 0x0
	v_mul_lo_u32 v6, s21, v5
	v_mul_lo_u32 v4, s20, v4
	v_mad_co_u64_u32 v[1:2], null, s20, v5, v[1:2]
	s_delay_alu instid0(VALU_DEP_1)
	v_add3_u32 v2, v6, v2, v4
	s_wait_alu 0xfffe
	s_cbranch_vccnz .LBB0_9
; %bb.7:                                ;   in Loop: Header=BB0_2 Depth=1
	v_dual_mov_b32 v5, v7 :: v_dual_mov_b32 v6, v8
	s_branch .LBB0_2
.LBB0_8:
	v_dual_mov_b32 v8, v6 :: v_dual_mov_b32 v7, v5
.LBB0_9:
	s_lshl_b64 s[2:3], s[6:7], 3
	v_mul_hi_u32 v5, 0x4104105, v0
	s_wait_alu 0xfffe
	s_add_nc_u64 s[2:3], s[10:11], s[2:3]
                                        ; implicit-def: $vgpr116_vgpr117
                                        ; implicit-def: $vgpr120_vgpr121
                                        ; implicit-def: $vgpr104_vgpr105
                                        ; implicit-def: $vgpr96_vgpr97
                                        ; implicit-def: $vgpr108_vgpr109
                                        ; implicit-def: $vgpr92_vgpr93
                                        ; implicit-def: $vgpr100_vgpr101
                                        ; implicit-def: $vgpr112_vgpr113
                                        ; implicit-def: $vgpr88_vgpr89
                                        ; implicit-def: $vgpr64_vgpr65
                                        ; implicit-def: $vgpr80_vgpr81
                                        ; implicit-def: $vgpr76_vgpr77
                                        ; implicit-def: $vgpr72_vgpr73
                                        ; implicit-def: $vgpr84_vgpr85
                                        ; implicit-def: $vgpr68_vgpr69
                                        ; implicit-def: $vgpr36_vgpr37
                                        ; implicit-def: $vgpr56_vgpr57
                                        ; implicit-def: $vgpr52_vgpr53
                                        ; implicit-def: $vgpr40_vgpr41
                                        ; implicit-def: $vgpr60_vgpr61
                                        ; implicit-def: $vgpr44_vgpr45
                                        ; implicit-def: $vgpr10_vgpr11
                                        ; implicit-def: $vgpr32_vgpr33
                                        ; implicit-def: $vgpr28_vgpr29
                                        ; implicit-def: $vgpr18_vgpr19
                                        ; implicit-def: $vgpr48_vgpr49
                                        ; implicit-def: $vgpr24_vgpr25
	s_load_b64 s[2:3], s[2:3], 0x0
	s_load_b64 s[0:1], s[0:1], 0x20
	s_wait_kmcnt 0x0
	v_mul_lo_u32 v3, s2, v8
	v_mul_lo_u32 v4, s3, v7
	v_mad_co_u64_u32 v[1:2], null, s2, v7, v[1:2]
	v_cmp_gt_u64_e32 vcc_lo, s[0:1], v[7:8]
	s_delay_alu instid0(VALU_DEP_2) | instskip(SKIP_1) | instid1(VALU_DEP_2)
	v_add3_u32 v2, v4, v2, v3
	v_mul_u32_u24_e32 v3, 63, v5
	v_lshlrev_b64_e32 v[154:155], 4, v[1:2]
	s_delay_alu instid0(VALU_DEP_2)
	v_sub_nc_u32_e32 v156, v0, v3
	s_and_saveexec_b32 s1, vcc_lo
	s_cbranch_execz .LBB0_13
; %bb.10:
	v_mov_b32_e32 v157, 0
	s_delay_alu instid0(VALU_DEP_3) | instskip(SKIP_2) | instid1(VALU_DEP_3)
	v_add_co_u32 v2, s0, s8, v154
	s_wait_alu 0xf1ff
	v_add_co_ci_u32_e64 v3, s0, s9, v155, s0
	v_lshlrev_b64_e32 v[0:1], 4, v[156:157]
	s_mov_b32 s2, exec_lo
                                        ; implicit-def: $vgpr102_vgpr103
                                        ; implicit-def: $vgpr118_vgpr119
                                        ; implicit-def: $vgpr114_vgpr115
	s_delay_alu instid0(VALU_DEP_1) | instskip(SKIP_1) | instid1(VALU_DEP_2)
	v_add_co_u32 v0, s0, v2, v0
	s_wait_alu 0xf1ff
	v_add_co_ci_u32_e64 v1, s0, v3, v1, s0
	s_clause 0x17
	global_load_b128 v[22:25], v[0:1], off
	global_load_b128 v[26:29], v[0:1], off offset:1008
	global_load_b128 v[46:49], v[0:1], off offset:8400
	;; [unrolled: 1-line block ×23, first 2 shown]
	v_cmpx_gt_u32_e32 21, v156
; %bb.11:
	s_clause 0x2
	global_load_b128 v[102:105], v[0:1], off offset:8064
	global_load_b128 v[118:121], v[0:1], off offset:16464
	;; [unrolled: 1-line block ×3, first 2 shown]
; %bb.12:
	s_wait_alu 0xfffe
	s_or_b32 exec_lo, exec_lo, s2
.LBB0_13:
	s_wait_alu 0xfffe
	s_or_b32 exec_lo, exec_lo, s1
	s_wait_loadcnt 0xd
	v_add_f64_e32 v[0:1], v[38:39], v[58:59]
	s_wait_loadcnt 0xc
	v_add_f64_e32 v[2:3], v[34:35], v[54:55]
	;; [unrolled: 2-line block ×4, first 2 shown]
	v_add_f64_e32 v[124:125], v[114:115], v[118:119]
	v_add_f64_e32 v[4:5], v[70:71], v[82:83]
	v_add_f64_e32 v[6:7], v[16:17], v[46:47]
	v_add_f64_e32 v[12:13], v[8:9], v[30:31]
	v_add_f64_e32 v[20:21], v[98:99], v[110:111]
	v_add_f64_e64 v[126:127], v[60:61], -v[40:41]
	v_add_f64_e64 v[128:129], v[56:57], -v[36:37]
	v_add_f64_e32 v[130:131], v[78:79], v[74:75]
	v_add_f64_e32 v[136:137], v[30:31], v[26:27]
	;; [unrolled: 1-line block ×8, first 2 shown]
	v_add_f64_e64 v[132:133], v[84:85], -v[72:73]
	v_add_f64_e32 v[134:135], v[46:47], v[22:23]
	v_add_f64_e64 v[138:139], v[48:49], -v[18:19]
	v_add_f64_e64 v[140:141], v[32:33], -v[10:11]
	s_mov_b32 s0, 0xe8584caa
	s_mov_b32 s1, 0xbfebb67a
	;; [unrolled: 1-line block ×3, first 2 shown]
	s_wait_alu 0xfffe
	s_mov_b32 s2, s0
	v_fma_f64 v[0:1], v[0:1], -0.5, v[42:43]
	v_fma_f64 v[2:3], v[2:3], -0.5, v[50:51]
	;; [unrolled: 1-line block ×4, first 2 shown]
	v_add_f64_e64 v[74:75], v[120:121], -v[116:117]
	v_fma_f64 v[90:91], v[124:125], -0.5, v[102:103]
	v_fma_f64 v[4:5], v[4:5], -0.5, v[66:67]
	v_fma_f64 v[6:7], v[6:7], -0.5, v[22:23]
	v_fma_f64 v[12:13], v[12:13], -0.5, v[26:27]
	v_add_f64_e64 v[22:23], v[80:81], -v[64:65]
	v_add_f64_e64 v[26:27], v[112:113], -v[100:101]
	v_fma_f64 v[20:21], v[20:21], -0.5, v[86:87]
	v_add_f64_e64 v[42:43], v[108:109], -v[96:97]
	v_add_f64_e32 v[102:103], v[62:63], v[130:131]
	v_add_f64_e32 v[124:125], v[8:9], v[136:137]
	;; [unrolled: 1-line block ×9, first 2 shown]
	s_wait_alu 0xfffe
	v_fma_f64 v[146:147], v[126:127], s[2:3], v[0:1]
	v_fma_f64 v[148:149], v[128:129], s[2:3], v[2:3]
	;; [unrolled: 1-line block ×18, first 2 shown]
	v_mad_u32_u24 v42, v156, 24, 0
	v_cmp_gt_u32_e64 s0, 21, v156
	s_delay_alu instid0(VALU_DEP_2)
	v_add_nc_u32_e32 v26, 0x11b8, v42
	v_add_nc_u32_e32 v51, 0xa00, v42
	;; [unrolled: 1-line block ×9, first 2 shown]
	ds_store_2addr_b64 v51, v[146:147], v[148:149] offset0:60 offset1:249
	ds_store_2addr_b64 v90, v[150:151], v[102:103] offset0:54 offset1:241
	ds_store_2addr_b64 v42, v[122:123], v[152:153] offset1:1
	ds_store_2addr_b64 v42, v[124:125], v[157:158] offset0:189 offset1:190
	ds_store_2addr_b64 v42, v[6:7], v[12:13] offset0:2 offset1:191
	ds_store_2addr_b64 v50, v[130:131], v[0:1] offset1:1
	ds_store_2addr_b64 v26, v[134:135], v[2:3] offset1:1
	;; [unrolled: 1-line block ×4, first 2 shown]
	ds_store_b64 v42, v[142:143] offset:9072
	ds_store_2addr_b64 v138, v[22:23], v[20:21] offset1:1
	ds_store_b64 v42, v[144:145] offset:10584
	ds_store_2addr_b64 v139, v[128:129], v[132:133] offset1:1
	s_and_saveexec_b32 s1, s0
	s_cbranch_execz .LBB0_15
; %bb.14:
	ds_store_2addr_b64 v27, v[66:67], v[86:87] offset1:1
	ds_store_b64 v26, v[74:75] offset:7576
.LBB0_15:
	s_wait_alu 0xfffe
	s_or_b32 exec_lo, exec_lo, s1
	v_lshl_add_u32 v158, v156, 3, 0
	global_wb scope:SCOPE_SE
	s_wait_dscnt 0x0
	s_barrier_signal -1
	s_barrier_wait -1
	global_inv scope:SCOPE_SE
	v_add_nc_u32_e32 v12, 0x1000, v158
	v_add_nc_u32_e32 v13, 0x2000, v158
	;; [unrolled: 1-line block ×3, first 2 shown]
	ds_load_2addr_b64 v[4:7], v158 offset1:63
	ds_load_2addr_b64 v[0:3], v158 offset0:126 offset1:189
	ds_load_2addr_b64 v[150:153], v12 offset0:13 offset1:76
	ds_load_2addr_b64 v[142:145], v13 offset0:26 offset1:89
	ds_load_2addr_b64 v[130:133], v12 offset0:139 offset1:202
	v_add_nc_u32_e32 v12, 0x400, v158
	v_add_nc_u32_e32 v90, 0x2800, v158
	;; [unrolled: 1-line block ×3, first 2 shown]
	ds_load_2addr_b64 v[146:149], v13 offset0:152 offset1:215
	ds_load_2addr_b64 v[20:23], v12 offset0:124 offset1:187
	;; [unrolled: 1-line block ×7, first 2 shown]
	s_and_saveexec_b32 s1, s0
	s_cbranch_execz .LBB0_17
; %bb.16:
	ds_load_b64 v[66:67], v158 offset:4032
	ds_load_b64 v[86:87], v158 offset:8232
	;; [unrolled: 1-line block ×3, first 2 shown]
.LBB0_17:
	s_wait_alu 0xfffe
	s_or_b32 exec_lo, exec_lo, s1
	v_add_f64_e32 v[90:91], v[18:19], v[48:49]
	v_add_f64_e32 v[102:103], v[10:11], v[32:33]
	;; [unrolled: 1-line block ×10, first 2 shown]
	v_add_f64_e64 v[16:17], v[46:47], -v[16:17]
	v_add_f64_e32 v[32:33], v[32:33], v[28:29]
	v_add_f64_e32 v[46:47], v[60:61], v[44:45]
	;; [unrolled: 1-line block ×7, first 2 shown]
	v_add_f64_e64 v[8:9], v[30:31], -v[8:9]
	v_add_f64_e64 v[30:31], v[58:59], -v[38:39]
	;; [unrolled: 1-line block ×4, first 2 shown]
	v_add_f64_e32 v[108:109], v[108:109], v[92:93]
	s_mov_b32 s2, 0xe8584caa
	s_mov_b32 s3, 0x3febb67a
	;; [unrolled: 1-line block ×3, first 2 shown]
	s_wait_alu 0xfffe
	s_mov_b32 s6, s2
	global_wb scope:SCOPE_SE
	s_wait_dscnt 0x0
	s_barrier_signal -1
	s_barrier_wait -1
	global_inv scope:SCOPE_SE
	v_fma_f64 v[24:25], v[90:91], -0.5, v[24:25]
	v_fma_f64 v[28:29], v[102:103], -0.5, v[28:29]
	v_fma_f64 v[38:39], v[159:160], -0.5, v[44:45]
	v_fma_f64 v[44:45], v[161:162], -0.5, v[52:53]
	v_add_f64_e64 v[51:52], v[82:83], -v[70:71]
	v_fma_f64 v[53:54], v[163:164], -0.5, v[68:69]
	v_fma_f64 v[62:63], v[165:166], -0.5, v[76:77]
	v_add_f64_e64 v[68:69], v[110:111], -v[98:99]
	v_fma_f64 v[70:71], v[167:168], -0.5, v[88:89]
	v_add_f64_e64 v[82:83], v[118:119], -v[114:115]
	v_fma_f64 v[88:89], v[171:172], -0.5, v[104:105]
	v_add_f64_e64 v[76:77], v[106:107], -v[94:95]
	v_fma_f64 v[78:79], v[169:170], -0.5, v[92:93]
	v_add_f64_e32 v[18:19], v[18:19], v[48:49]
	v_add_f64_e32 v[10:11], v[10:11], v[32:33]
	;; [unrolled: 1-line block ×8, first 2 shown]
	v_add_nc_u32_e32 v84, 0x2200, v42
	v_add_f64_e32 v[55:56], v[96:97], v[108:109]
	v_fma_f64 v[60:61], v[16:17], s[2:3], v[24:25]
	s_wait_alu 0xfffe
	v_fma_f64 v[16:17], v[16:17], s[6:7], v[24:25]
	v_fma_f64 v[24:25], v[8:9], s[2:3], v[28:29]
	;; [unrolled: 1-line block ×17, first 2 shown]
	v_add_nc_u32_e32 v59, 0xa00, v42
	v_add_nc_u32_e32 v78, 0x1d88, v42
	;; [unrolled: 1-line block ×5, first 2 shown]
	ds_store_2addr_b64 v42, v[18:19], v[60:61] offset1:1
	ds_store_2addr_b64 v42, v[10:11], v[24:25] offset0:189 offset1:190
	ds_store_2addr_b64 v42, v[16:17], v[8:9] offset0:2 offset1:191
	ds_store_2addr_b64 v50, v[32:33], v[28:29] offset1:1
	ds_store_2addr_b64 v26, v[36:37], v[38:39] offset1:1
	ds_store_2addr_b64 v59, v[30:31], v[34:35] offset0:60 offset1:249
	ds_store_2addr_b64 v43, v[40:41], v[44:45] offset1:1
	ds_store_2addr_b64 v78, v[46:47], v[53:54] offset1:1
	;; [unrolled: 3-line block ×3, first 2 shown]
	ds_store_2addr_b64 v84, v[72:73], v[76:77] offset0:48 offset1:237
	s_and_saveexec_b32 s1, s0
	s_cbranch_execz .LBB0_19
; %bb.18:
	ds_store_2addr_b64 v27, v[64:65], v[70:71] offset1:1
	ds_store_b64 v26, v[68:69] offset:7576
.LBB0_19:
	s_wait_alu 0xfffe
	s_or_b32 exec_lo, exec_lo, s1
	v_add_nc_u32_e32 v24, 0x1000, v158
	v_add_nc_u32_e32 v25, 0x2000, v158
	global_wb scope:SCOPE_SE
	s_wait_dscnt 0x0
	s_barrier_signal -1
	s_barrier_wait -1
	global_inv scope:SCOPE_SE
	ds_load_2addr_b64 v[16:19], v158 offset1:63
	ds_load_2addr_b64 v[60:63], v24 offset0:13 offset1:76
	ds_load_2addr_b64 v[48:51], v25 offset0:26 offset1:89
	;; [unrolled: 1-line block ×4, first 2 shown]
	v_add_nc_u32_e32 v24, 0x400, v158
	v_add_nc_u32_e32 v32, 0x1800, v158
	;; [unrolled: 1-line block ×4, first 2 shown]
	ds_load_2addr_b64 v[56:59], v25 offset0:152 offset1:215
	ds_load_2addr_b64 v[28:31], v24 offset0:124 offset1:187
	;; [unrolled: 1-line block ×7, first 2 shown]
	s_and_saveexec_b32 s1, s0
	s_cbranch_execz .LBB0_21
; %bb.20:
	ds_load_b64 v[64:65], v158 offset:4032
	ds_load_b64 v[70:71], v158 offset:8232
	;; [unrolled: 1-line block ×3, first 2 shown]
.LBB0_21:
	s_wait_alu 0xfffe
	s_or_b32 exec_lo, exec_lo, s1
	v_add_nc_u32_e32 v159, 63, v156
	v_and_b32_e32 v113, 0xff, v156
	v_add_nc_u32_e32 v160, 0x7e, v156
	v_add_nc_u32_e32 v161, 0xbd, v156
	;; [unrolled: 1-line block ×3, first 2 shown]
	v_and_b32_e32 v164, 0xff, v159
	v_mul_lo_u16 v72, 0xab, v113
	v_add_nc_u32_e32 v84, 0x13b, v156
	v_and_b32_e32 v163, 0xff, v160
	v_and_b32_e32 v162, 0xff, v161
	v_mul_lo_u16 v73, 0xab, v164
	v_lshrrev_b16 v115, 9, v72
	v_add_nc_u32_e32 v85, 0x17a, v156
	v_add_nc_u32_e32 v92, 0x1b9, v156
	v_and_b32_e32 v112, 0xffff, v157
	v_lshrrev_b16 v114, 9, v73
	v_mul_lo_u16 v72, v115, 3
	v_mul_lo_u16 v90, 0xab, v163
	v_mul_lo_u16 v91, 0xab, v162
	v_and_b32_e32 v88, 0xffff, v85
	v_mul_lo_u16 v73, v114, 3
	v_sub_nc_u16 v72, v156, v72
	v_and_b32_e32 v89, 0xffff, v92
	v_mul_u32_u24_e32 v94, 0xaaab, v112
	v_lshrrev_b16 v223, 9, v90
	v_sub_nc_u16 v73, v159, v73
	v_and_b32_e32 v221, 0xff, v72
	v_lshrrev_b16 v224, 9, v91
	v_mul_u32_u24_e32 v88, 0xaaab, v88
	v_mul_u32_u24_e32 v89, 0xaaab, v89
	v_and_b32_e32 v222, 0xff, v73
	v_and_b32_e32 v73, 0xffff, v84
	v_lshlrev_b32_e32 v72, 5, v221
	v_lshrrev_b32_e32 v225, 17, v94
	v_mul_lo_u16 v94, v224, 3
	v_lshrrev_b32_e32 v227, 17, v88
	v_mul_u32_u24_e32 v73, 0xaaab, v73
	global_load_b128 v[76:79], v72, s[4:5]
	v_lshrrev_b32_e32 v228, 17, v89
	global_load_b128 v[88:91], v72, s[4:5] offset:16
	v_mul_lo_u16 v72, v225, 3
	v_lshrrev_b32_e32 v226, 17, v73
	v_mul_lo_u16 v73, v223, 3
	v_sub_nc_u16 v94, v161, v94
	v_mul_lo_u16 v96, v227, 3
	v_sub_nc_u16 v72, v157, v72
	v_mul_lo_u16 v95, v226, 3
	v_sub_nc_u16 v73, v160, v73
	v_mul_lo_u16 v97, v228, 3
	v_and_b32_e32 v230, 0xff, v94
	v_lshlrev_b32_e32 v93, 5, v222
	v_sub_nc_u16 v84, v84, v95
	v_and_b32_e32 v229, 0xff, v73
	v_sub_nc_u16 v73, v85, v96
	v_and_b32_e32 v231, 0xffff, v72
	;; [unrolled: 2-line block ×3, first 2 shown]
	v_lshlrev_b32_e32 v72, 5, v229
	v_lshlrev_b32_e32 v92, 5, v230
	s_clause 0x1
	global_load_b128 v[80:83], v93, s[4:5]
	global_load_b128 v[116:119], v93, s[4:5] offset:16
	v_lshlrev_b32_e32 v84, 5, v231
	s_clause 0x2
	global_load_b128 v[165:168], v72, s[4:5]
	global_load_b128 v[169:172], v92, s[4:5]
	global_load_b128 v[173:176], v72, s[4:5] offset:16
	v_and_b32_e32 v233, 0xffff, v73
	v_lshlrev_b32_e32 v72, 5, v232
	v_and_b32_e32 v234, 0xffff, v85
	s_clause 0x2
	global_load_b128 v[177:180], v92, s[4:5] offset:16
	global_load_b128 v[181:184], v84, s[4:5]
	global_load_b128 v[185:188], v72, s[4:5]
	v_lshlrev_b32_e32 v73, 5, v233
	s_clause 0x1
	global_load_b128 v[189:192], v84, s[4:5] offset:16
	global_load_b128 v[193:196], v72, s[4:5] offset:16
	v_add_nc_u32_e32 v72, 0x1f8, v156
	v_lshlrev_b32_e32 v84, 5, v234
	s_clause 0x3
	global_load_b128 v[197:200], v73, s[4:5]
	global_load_b128 v[201:204], v84, s[4:5]
	global_load_b128 v[205:208], v73, s[4:5] offset:16
	global_load_b128 v[209:212], v84, s[4:5] offset:16
	v_and_b32_e32 v73, 0xffff, v72
	s_mov_b32 s2, 0xe8584caa
	s_mov_b32 s3, 0xbfebb67a
	;; [unrolled: 1-line block ×3, first 2 shown]
	s_wait_alu 0xfffe
	s_mov_b32 s6, s2
	v_mul_u32_u24_e32 v73, 0xaaab, v73
	v_and_b32_e32 v114, 0xffff, v114
	s_delay_alu instid0(VALU_DEP_2) | instskip(NEXT) | instid1(VALU_DEP_1)
	v_lshrrev_b32_e32 v235, 17, v73
	v_mul_lo_u16 v73, v235, 3
	s_delay_alu instid0(VALU_DEP_1) | instskip(NEXT) | instid1(VALU_DEP_1)
	v_sub_nc_u16 v72, v72, v73
	v_and_b32_e32 v236, 0xffff, v72
	s_delay_alu instid0(VALU_DEP_1)
	v_lshlrev_b32_e32 v72, 5, v236
	s_clause 0x1
	global_load_b128 v[213:216], v72, s[4:5]
	global_load_b128 v[217:220], v72, s[4:5] offset:16
	global_wb scope:SCOPE_SE
	s_wait_loadcnt_dscnt 0x0
	s_barrier_signal -1
	s_barrier_wait -1
	global_inv scope:SCOPE_SE
	v_mul_f64_e32 v[72:73], v[60:61], v[78:79]
	v_mul_f64_e32 v[78:79], v[150:151], v[78:79]
	;; [unrolled: 1-line block ×17, first 2 shown]
	v_fma_f64 v[72:73], v[150:151], v[76:77], v[72:73]
	v_fma_f64 v[76:77], v[60:61], v[76:77], -v[78:79]
	v_mul_f64_e32 v[150:151], v[38:39], v[203:204]
	v_fma_f64 v[48:49], v[48:49], v[88:89], -v[90:91]
	v_fma_f64 v[60:61], v[152:153], v[80:81], v[84:85]
	v_fma_f64 v[62:63], v[62:63], v[80:81], -v[82:83]
	v_mul_f64_e32 v[152:153], v[32:33], v[207:208]
	v_fma_f64 v[84:85], v[142:143], v[88:89], v[92:93]
	v_mul_f64_e32 v[142:143], v[34:35], v[211:212]
	v_fma_f64 v[82:83], v[130:131], v[165:166], v[96:97]
	v_fma_f64 v[92:93], v[146:147], v[173:174], v[100:101]
	;; [unrolled: 1-line block ×3, first 2 shown]
	v_mul_f64_e32 v[144:145], v[130:131], v[167:168]
	v_mul_f64_e32 v[167:168], v[132:133], v[171:172]
	v_fma_f64 v[80:81], v[132:133], v[169:170], v[98:99]
	v_fma_f64 v[100:101], v[134:135], v[189:190], v[108:109]
	;; [unrolled: 1-line block ×3, first 2 shown]
	v_mul_f64_e32 v[130:131], v[146:147], v[175:176]
	v_mul_f64_e32 v[132:133], v[148:149], v[179:180]
	;; [unrolled: 1-line block ×4, first 2 shown]
	v_fma_f64 v[88:89], v[148:149], v[177:178], v[102:103]
	v_mul_f64_e32 v[146:147], v[138:139], v[183:184]
	v_mul_f64_e32 v[148:149], v[134:135], v[191:192]
	v_fma_f64 v[94:95], v[138:139], v[181:182], v[104:105]
	v_fma_f64 v[90:91], v[140:141], v[185:186], v[106:107]
	v_mul_f64_e32 v[138:139], v[140:141], v[187:188]
	v_mul_f64_e32 v[140:141], v[136:137], v[195:196]
	;; [unrolled: 1-line block ×4, first 2 shown]
	v_fma_f64 v[102:103], v[126:127], v[197:198], v[120:121]
	v_fma_f64 v[98:99], v[128:129], v[201:202], v[150:151]
	v_mul_f64_e32 v[126:127], v[74:75], v[219:220]
	v_mul_f64_e32 v[120:121], v[128:129], v[203:204]
	v_fma_f64 v[50:51], v[50:51], v[116:117], -v[118:119]
	v_and_b32_e32 v150, 0xffff, v115
	v_mul_u32_u24_e32 v175, 0x48, v226
	v_mul_u32_u24_e32 v176, 0x48, v227
	v_fma_f64 v[106:107], v[122:123], v[205:206], v[152:153]
	v_mul_f64_e32 v[122:123], v[124:125], v[211:212]
	v_fma_f64 v[104:105], v[124:125], v[209:210], v[142:143]
	v_mul_f64_e32 v[124:125], v[86:87], v[215:216]
	v_add_f64_e32 v[116:117], v[82:83], v[92:93]
	v_fma_f64 v[108:109], v[86:87], v[213:214], v[108:109]
	v_fma_f64 v[86:87], v[74:75], v[217:218], v[110:111]
	v_fma_f64 v[74:75], v[44:45], v[165:166], -v[144:145]
	v_fma_f64 v[110:111], v[46:47], v[169:170], -v[167:168]
	;; [unrolled: 1-line block ×4, first 2 shown]
	v_add_f64_e32 v[56:57], v[72:73], v[84:85]
	v_add_f64_e32 v[58:59], v[60:61], v[78:79]
	;; [unrolled: 1-line block ×3, first 2 shown]
	v_fma_f64 v[52:53], v[52:53], v[181:182], -v[146:147]
	v_fma_f64 v[40:41], v[40:41], v[189:190], -v[148:149]
	v_add_f64_e32 v[128:129], v[94:95], v[100:101]
	v_fma_f64 v[54:55], v[54:55], v[185:186], -v[138:139]
	v_fma_f64 v[68:69], v[68:69], v[217:218], -v[126:127]
	;; [unrolled: 1-line block ×4, first 2 shown]
	v_add_f64_e32 v[120:121], v[90:91], v[96:97]
	v_fma_f64 v[36:37], v[36:37], v[197:198], -v[134:135]
	v_fma_f64 v[32:33], v[32:33], v[205:206], -v[136:137]
	v_add_f64_e32 v[130:131], v[4:5], v[72:73]
	v_add_f64_e64 v[132:133], v[76:77], -v[48:49]
	v_add_f64_e32 v[134:135], v[6:7], v[60:61]
	v_add_f64_e32 v[136:137], v[0:1], v[82:83]
	;; [unrolled: 1-line block ×5, first 2 shown]
	v_fma_f64 v[34:35], v[34:35], v[209:210], -v[122:123]
	v_add_f64_e32 v[122:123], v[102:103], v[106:107]
	v_fma_f64 v[70:71], v[70:71], v[213:214], -v[124:125]
	v_add_f64_e32 v[124:125], v[98:99], v[104:105]
	v_fma_f64 v[0:1], v[116:117], -0.5, v[0:1]
	v_add_f64_e32 v[140:141], v[20:21], v[94:95]
	v_add_f64_e32 v[142:143], v[22:23], v[90:91]
	v_and_b32_e32 v173, 0xffff, v224
	v_mul_u32_u24_e32 v178, 0x48, v114
	v_lshlrev_b32_e32 v114, 3, v221
	v_mul_u32_u24_e32 v174, 0x48, v225
	v_mul_u32_u24_e32 v177, 0x48, v228
	v_add_f64_e32 v[126:127], v[108:109], v[86:87]
	v_add_f64_e64 v[115:116], v[110:111], -v[46:47]
	v_fma_f64 v[4:5], v[56:57], -0.5, v[4:5]
	v_add_f64_e64 v[56:57], v[62:63], -v[50:51]
	v_fma_f64 v[6:7], v[58:59], -0.5, v[6:7]
	;; [unrolled: 2-line block ×5, first 2 shown]
	v_mul_u32_u24_e32 v22, 0x48, v150
	v_add_f64_e64 v[148:149], v[36:37], -v[32:33]
	v_add_f64_e32 v[130:131], v[130:131], v[84:85]
	v_mul_lo_u16 v23, v235, 9
	v_add_f64_e32 v[134:135], v[134:135], v[78:79]
	v_add_f64_e32 v[136:137], v[136:137], v[92:93]
	v_add_f64_e32 v[138:139], v[138:139], v[88:89]
	v_add_f64_e32 v[144:145], v[144:145], v[106:107]
	v_add_f64_e32 v[146:147], v[146:147], v[104:105]
	v_fma_f64 v[12:13], v[122:123], -0.5, v[12:13]
	v_add_f64_e64 v[121:122], v[38:39], -v[34:35]
	v_fma_f64 v[14:15], v[124:125], -0.5, v[14:15]
	v_add_f64_e64 v[123:124], v[70:71], -v[68:69]
	v_add_f64_e32 v[140:141], v[140:141], v[100:101]
	v_add_f64_e32 v[142:143], v[142:143], v[96:97]
	v_fma_f64 v[125:126], v[126:127], -0.5, v[66:67]
	v_and_b32_e32 v127, 0xffff, v223
	v_fma_f64 v[150:151], v[132:133], s[2:3], v[4:5]
	s_wait_alu 0xfffe
	v_fma_f64 v[4:5], v[132:133], s[6:7], v[4:5]
	v_fma_f64 v[132:133], v[56:57], s[2:3], v[6:7]
	;; [unrolled: 1-line block ×10, first 2 shown]
	v_mul_u32_u24_e32 v179, 0x48, v127
	v_fma_f64 v[127:128], v[128:129], s[6:7], v[119:120]
	v_mul_u32_u24_e32 v116, 0x48, v173
	v_add3_u32 v115, 0, v22, v114
	v_lshlrev_b32_e32 v22, 3, v222
	v_lshlrev_b32_e32 v117, 3, v229
	;; [unrolled: 1-line block ×5, first 2 shown]
	v_fma_f64 v[171:172], v[148:149], s[2:3], v[12:13]
	v_fma_f64 v[12:13], v[148:149], s[6:7], v[12:13]
	v_fma_f64 v[148:149], v[121:122], s[2:3], v[14:15]
	v_fma_f64 v[14:15], v[121:122], s[6:7], v[14:15]
	v_add3_u32 v122, 0, v178, v22
	v_add3_u32 v121, 0, v179, v117
	;; [unrolled: 1-line block ×4, first 2 shown]
	v_fma_f64 v[0:1], v[123:124], s[2:3], v[125:126]
	v_fma_f64 v[2:3], v[123:124], s[6:7], v[125:126]
	v_lshlrev_b32_e32 v123, 3, v232
	v_lshlrev_b32_e32 v124, 3, v233
	;; [unrolled: 1-line block ×3, first 2 shown]
	s_delay_alu instid0(VALU_DEP_3) | instskip(NEXT) | instid1(VALU_DEP_3)
	v_add3_u32 v118, 0, v175, v123
	v_add3_u32 v117, 0, v176, v124
	s_delay_alu instid0(VALU_DEP_3)
	v_add3_u32 v116, 0, v177, v125
	ds_store_2addr_b64 v115, v[130:131], v[150:151] offset1:3
	ds_store_b64 v115, v[4:5] offset:48
	ds_store_2addr_b64 v122, v[134:135], v[132:133] offset1:3
	ds_store_b64 v122, v[6:7] offset:48
	;; [unrolled: 2-line block ×8, first 2 shown]
	s_and_saveexec_b32 s1, s0
	s_cbranch_execz .LBB0_23
; %bb.22:
	v_add_f64_e32 v[4:5], v[66:67], v[108:109]
	v_and_b32_e32 v6, 0xffff, v23
	s_delay_alu instid0(VALU_DEP_1) | instskip(NEXT) | instid1(VALU_DEP_1)
	v_lshlrev_b32_e32 v6, 3, v6
	v_add3_u32 v6, 0, v114, v6
	s_delay_alu instid0(VALU_DEP_4)
	v_add_f64_e32 v[4:5], v[4:5], v[86:87]
	ds_store_2addr_b64 v6, v[4:5], v[0:1] offset1:3
	ds_store_b64 v6, v[2:3] offset:48
.LBB0_23:
	s_wait_alu 0xfffe
	s_or_b32 exec_lo, exec_lo, s1
	v_add_f64_e32 v[4:5], v[76:77], v[48:49]
	v_add_f64_e32 v[6:7], v[62:63], v[50:51]
	;; [unrolled: 1-line block ×10, first 2 shown]
	v_add_f64_e64 v[72:73], v[72:73], -v[84:85]
	v_add_f64_e32 v[84:85], v[18:19], v[62:63]
	v_add_f64_e32 v[74:75], v[8:9], v[74:75]
	;; [unrolled: 1-line block ×7, first 2 shown]
	v_add_nc_u32_e32 v62, 0x1000, v158
	v_add_nc_u32_e32 v22, 0x2400, v158
	global_wb scope:SCOPE_SE
	s_wait_dscnt 0x0
	s_barrier_signal -1
	s_barrier_wait -1
	global_inv scope:SCOPE_SE
	v_add_nc_u32_e32 v128, 0x800, v158
	v_add_nc_u32_e32 v129, 0x1400, v158
	;; [unrolled: 1-line block ×4, first 2 shown]
	v_fma_f64 v[4:5], v[4:5], -0.5, v[16:17]
	v_add_f64_e64 v[16:17], v[60:61], -v[78:79]
	v_fma_f64 v[6:7], v[6:7], -0.5, v[18:19]
	v_add_f64_e64 v[18:19], v[82:83], -v[92:93]
	v_add_f64_e64 v[82:83], v[108:109], -v[86:87]
	v_fma_f64 v[86:87], v[123:124], -0.5, v[64:65]
	v_fma_f64 v[12:13], v[12:13], -0.5, v[8:9]
	v_add_f64_e64 v[60:61], v[80:81], -v[88:89]
	v_fma_f64 v[14:15], v[14:15], -0.5, v[10:11]
	v_add_f64_e64 v[78:79], v[94:95], -v[100:101]
	;; [unrolled: 2-line block ×5, first 2 shown]
	v_fma_f64 v[26:27], v[66:67], -0.5, v[26:27]
	v_add_f64_e32 v[76:77], v[76:77], v[48:49]
	v_add_f64_e32 v[84:85], v[84:85], v[50:51]
	;; [unrolled: 1-line block ×3, first 2 shown]
	v_add_nc_u32_e32 v20, 0x400, v158
	v_add_f64_e32 v[88:89], v[110:111], v[46:47]
	v_add_nc_u32_e32 v66, 0x1800, v158
	v_add_f64_e32 v[90:91], v[52:53], v[40:41]
	ds_load_2addr_b64 v[8:11], v158 offset1:63
	v_add_f64_e32 v[92:93], v[54:55], v[42:43]
	v_add_f64_e32 v[94:95], v[36:37], v[32:33]
	v_add_f64_e32 v[96:97], v[38:39], v[34:35]
	v_add_nc_u32_e32 v21, 0x1c00, v158
	v_add_nc_u32_e32 v67, 0x2800, v158
	v_fma_f64 v[98:99], v[72:73], s[6:7], v[4:5]
	v_fma_f64 v[72:73], v[72:73], s[2:3], v[4:5]
	;; [unrolled: 1-line block ×18, first 2 shown]
	ds_load_2addr_b64 v[12:15], v158 offset0:126 offset1:189
	ds_load_b64 v[60:61], v158 offset:12096
	ds_load_2addr_b64 v[16:19], v20 offset0:124 offset1:187
	ds_load_2addr_b64 v[56:59], v62 offset0:118 offset1:181
	;; [unrolled: 1-line block ×10, first 2 shown]
	global_wb scope:SCOPE_SE
	s_wait_dscnt 0x0
	s_barrier_signal -1
	s_barrier_wait -1
	global_inv scope:SCOPE_SE
	ds_store_2addr_b64 v115, v[76:77], v[98:99] offset1:3
	ds_store_b64 v115, v[72:73] offset:48
	ds_store_2addr_b64 v122, v[84:85], v[100:101] offset1:3
	ds_store_b64 v122, v[102:103] offset:48
	;; [unrolled: 2-line block ×8, first 2 shown]
	s_and_saveexec_b32 s1, s0
	s_cbranch_execz .LBB0_25
; %bb.24:
	v_add_f64_e32 v[64:65], v[64:65], v[70:71]
	v_and_b32_e32 v23, 0xffff, v23
	s_delay_alu instid0(VALU_DEP_1) | instskip(NEXT) | instid1(VALU_DEP_1)
	v_lshlrev_b32_e32 v23, 3, v23
	v_add3_u32 v23, 0, v114, v23
	s_delay_alu instid0(VALU_DEP_4)
	v_add_f64_e32 v[64:65], v[64:65], v[68:69]
	ds_store_2addr_b64 v23, v[64:65], v[4:5] offset1:3
	ds_store_b64 v23, v[6:7] offset:48
.LBB0_25:
	s_wait_alu 0xfffe
	s_or_b32 exec_lo, exec_lo, s1
	v_mul_lo_u16 v23, v113, 57
	v_mul_lo_u16 v64, v164, 57
	;; [unrolled: 1-line block ×3, first 2 shown]
	global_wb scope:SCOPE_SE
	s_wait_dscnt 0x0
	s_barrier_signal -1
	v_lshrrev_b16 v65, 9, v23
	v_lshrrev_b16 v64, 9, v64
	;; [unrolled: 1-line block ×3, first 2 shown]
	s_barrier_wait -1
	global_inv scope:SCOPE_SE
	v_mul_lo_u16 v23, v65, 9
	v_mul_lo_u16 v69, v64, 9
	;; [unrolled: 1-line block ×3, first 2 shown]
	s_mov_b32 s2, 0x134454ff
	s_mov_b32 s3, 0xbfee6f0e
	v_sub_nc_u16 v23, v156, v23
	v_sub_nc_u16 v69, v159, v69
	;; [unrolled: 1-line block ×3, first 2 shown]
	s_mov_b32 s7, 0x3fee6f0e
	s_wait_alu 0xfffe
	s_mov_b32 s6, s2
	v_and_b32_e32 v68, 0xff, v23
	v_and_b32_e32 v69, 0xff, v69
	;; [unrolled: 1-line block ×3, first 2 shown]
	v_mul_lo_u16 v23, v162, 57
	s_mov_b32 s10, 0x4755a5e
	v_lshlrev_b32_e32 v80, 6, v68
	v_lshlrev_b32_e32 v81, 6, v69
	;; [unrolled: 1-line block ×3, first 2 shown]
	v_lshrrev_b16 v133, 9, v23
	v_mul_u32_u24_e32 v23, 0xe38f, v112
	s_clause 0x7
	global_load_b128 v[72:75], v80, s[4:5] offset:112
	global_load_b128 v[84:87], v80, s[4:5] offset:144
	;; [unrolled: 1-line block ×8, first 2 shown]
	v_mul_lo_u16 v82, v133, 9
	v_lshrrev_b32_e32 v150, 19, v23
	s_mov_b32 s11, 0xbfe2cf23
	s_mov_b32 s13, 0x3fe2cf23
	;; [unrolled: 1-line block ×3, first 2 shown]
	v_sub_nc_u16 v23, v161, v82
	v_mul_lo_u16 v82, v150, 9
	s_mov_b32 s14, 0x372fe950
	s_mov_b32 s15, 0x3fd3c6ef
	v_lshlrev_b32_e32 v68, 3, v68
	v_and_b32_e32 v151, 0xff, v23
	v_sub_nc_u16 v23, v157, v82
	v_lshlrev_b32_e32 v69, 3, v69
	v_lshlrev_b32_e32 v70, 3, v70
	v_cmp_gt_u32_e64 s0, 36, v156
	v_lshlrev_b32_e32 v82, 6, v151
	v_and_b32_e32 v152, 0xffff, v23
	s_clause 0x1
	global_load_b128 v[146:149], v83, s[4:5] offset:112
	global_load_b128 v[165:168], v82, s[4:5] offset:112
	v_lshlrev_b32_e32 v23, 6, v152
	s_clause 0x9
	global_load_b128 v[169:172], v83, s[4:5] offset:144
	global_load_b128 v[173:176], v82, s[4:5] offset:144
	;; [unrolled: 1-line block ×10, first 2 shown]
	ds_load_2addr_b64 v[201:204], v62 offset0:118 offset1:181
	ds_load_2addr_b64 v[205:208], v22 offset0:108 offset1:171
	;; [unrolled: 1-line block ×10, first 2 shown]
	ds_load_b64 v[237:238], v158 offset:12096
	s_wait_loadcnt_dscnt 0x130a
	v_mul_f64_e32 v[80:81], v[201:202], v[74:75]
	s_wait_loadcnt_dscnt 0x1209
	v_mul_f64_e32 v[94:95], v[205:206], v[86:87]
	s_wait_loadcnt 0x11
	v_mul_f64_e32 v[88:89], v[203:204], v[78:79]
	s_wait_loadcnt 0x10
	v_mul_f64_e32 v[96:97], v[207:208], v[104:105]
	v_mul_f64_e32 v[74:75], v[56:57], v[74:75]
	;; [unrolled: 1-line block ×3, first 2 shown]
	s_wait_loadcnt_dscnt 0xe08
	v_mul_f64_e32 v[100:101], v[211:212], v[136:137]
	s_wait_loadcnt_dscnt 0xc07
	v_mul_f64_e32 v[108:109], v[215:216], v[144:145]
	v_mul_f64_e32 v[78:79], v[58:59], v[78:79]
	v_mul_f64_e32 v[98:99], v[209:210], v[118:119]
	v_mul_f64_e32 v[106:107], v[213:214], v[140:141]
	v_mul_f64_e32 v[239:240], v[54:55], v[104:105]
	v_mul_f64_e32 v[136:137], v[50:51], v[136:137]
	s_wait_loadcnt_dscnt 0x905
	v_mul_f64_e32 v[114:115], v[221:222], v[171:172]
	s_wait_loadcnt 0x8
	v_mul_f64_e32 v[124:125], v[223:224], v[175:176]
	s_wait_loadcnt_dscnt 0x704
	v_mul_f64_e32 v[126:127], v[225:226], v[179:180]
	s_wait_loadcnt 0x6
	v_mul_f64_e32 v[130:131], v[227:228], v[183:184]
	v_mul_f64_e32 v[110:111], v[217:218], v[148:149]
	;; [unrolled: 1-line block ×3, first 2 shown]
	s_wait_loadcnt_dscnt 0x302
	v_mul_f64_e32 v[241:242], v[229:230], v[187:188]
	v_fma_f64 v[82:83], v[56:57], v[72:73], v[80:81]
	v_mul_f64_e32 v[56:57], v[22:23], v[92:93]
	v_fma_f64 v[80:81], v[58:59], v[76:77], v[88:89]
	;; [unrolled: 2-line block ×3, first 2 shown]
	v_mul_f64_e32 v[52:53], v[48:49], v[118:119]
	s_wait_loadcnt_dscnt 0x201
	v_mul_f64_e32 v[118:119], v[233:234], v[191:192]
	v_fma_f64 v[88:89], v[54:55], v[102:103], v[96:97]
	s_wait_loadcnt 0x1
	v_mul_f64_e32 v[54:55], v[235:236], v[195:196]
	v_fma_f64 v[74:75], v[201:202], v[72:73], -v[74:75]
	v_fma_f64 v[72:73], v[205:206], v[84:85], -v[86:87]
	v_fma_f64 v[84:85], v[50:51], v[134:135], v[100:101]
	v_mul_f64_e32 v[50:51], v[46:47], v[144:145]
	v_fma_f64 v[86:87], v[46:47], v[142:143], v[108:109]
	s_wait_loadcnt_dscnt 0x0
	v_mul_f64_e32 v[46:47], v[237:238], v[199:200]
	v_mul_f64_e32 v[201:202], v[18:19], v[92:93]
	v_fma_f64 v[96:97], v[48:49], v[116:117], v[98:99]
	v_mul_f64_e32 v[48:49], v[44:45], v[140:141]
	v_fma_f64 v[92:93], v[44:45], v[138:139], v[106:107]
	;; [unrolled: 2-line block ×3, first 2 shown]
	v_fma_f64 v[104:105], v[38:39], v[173:174], v[124:125]
	v_fma_f64 v[106:107], v[34:35], v[181:182], v[130:131]
	v_fma_f64 v[100:101], v[40:41], v[146:147], v[110:111]
	v_fma_f64 v[98:99], v[42:43], v[165:166], v[112:113]
	v_mul_f64_e32 v[40:41], v[42:43], v[167:168]
	v_mul_f64_e32 v[42:43], v[36:37], v[171:172]
	;; [unrolled: 1-line block ×4, first 2 shown]
	v_fma_f64 v[110:111], v[32:33], v[177:178], v[126:127]
	v_mul_f64_e32 v[32:33], v[34:35], v[183:184]
	v_mul_f64_e32 v[34:35], v[26:27], v[122:123]
	v_fma_f64 v[112:113], v[24:25], v[185:186], v[241:242]
	v_fma_f64 v[126:127], v[18:19], v[90:91], v[56:57]
	v_mul_f64_e32 v[18:19], v[24:25], v[187:188]
	v_fma_f64 v[124:125], v[26:27], v[120:121], v[58:59]
	v_mul_f64_e32 v[24:25], v[28:29], v[191:192]
	v_fma_f64 v[26:27], v[207:208], v[102:103], -v[239:240]
	v_fma_f64 v[118:119], v[28:29], v[189:190], v[118:119]
	v_mul_f64_e32 v[28:29], v[30:31], v[195:196]
	v_fma_f64 v[114:115], v[30:31], v[193:194], v[54:55]
	v_mul_f64_e32 v[30:31], v[60:61], v[199:200]
	v_add_f64_e32 v[167:168], v[12:13], v[84:85]
	v_fma_f64 v[122:123], v[60:61], v[197:198], v[46:47]
	v_fma_f64 v[130:131], v[22:23], v[90:91], -v[201:202]
	v_fma_f64 v[90:91], v[203:204], v[76:77], -v[78:79]
	;; [unrolled: 1-line block ×5, first 2 shown]
	v_add_f64_e32 v[60:61], v[10:11], v[96:97]
	v_add_f64_e64 v[191:192], v[86:87], -v[108:109]
	v_add_f64_e64 v[183:184], v[92:93], -v[88:89]
	v_add_f64_e32 v[171:172], v[16:17], v[106:107]
	v_add_f64_e64 v[187:188], v[108:109], -v[86:87]
	v_fma_f64 v[142:143], v[219:220], v[165:166], -v[40:41]
	v_fma_f64 v[44:45], v[221:222], v[169:170], -v[42:43]
	v_add_f64_e64 v[165:166], v[96:97], -v[80:81]
	v_fma_f64 v[140:141], v[225:226], v[177:178], -v[38:39]
	v_add_f64_e32 v[38:39], v[80:81], v[92:93]
	v_fma_f64 v[148:149], v[227:228], v[181:182], -v[32:33]
	v_fma_f64 v[46:47], v[231:232], v[120:121], -v[34:35]
	;; [unrolled: 1-line block ×5, first 2 shown]
	v_add_f64_e32 v[36:37], v[100:101], v[86:87]
	v_add_f64_e32 v[32:33], v[84:85], v[108:109]
	;; [unrolled: 1-line block ×4, first 2 shown]
	v_fma_f64 v[146:147], v[229:230], v[185:186], -v[18:19]
	v_add_f64_e32 v[22:23], v[82:83], v[124:125]
	v_fma_f64 v[136:137], v[233:234], v[189:190], -v[24:25]
	v_add_f64_e32 v[24:25], v[96:97], v[88:89]
	v_add_f64_e32 v[18:19], v[98:99], v[118:119]
	v_fma_f64 v[144:145], v[235:236], v[193:194], -v[28:29]
	v_add_f64_e32 v[28:29], v[112:113], v[114:115]
	v_fma_f64 v[138:139], v[237:238], v[197:198], -v[30:31]
	v_add_f64_e32 v[30:31], v[110:111], v[104:105]
	v_add_f64_e32 v[42:43], v[8:9], v[126:127]
	v_add_f64_e64 v[52:53], v[126:127], -v[82:83]
	v_add_f64_e64 v[54:55], v[94:95], -v[124:125]
	v_add_f64_e32 v[40:41], v[106:107], v[122:123]
	v_add_f64_e64 v[48:49], v[130:131], -v[72:73]
	v_add_f64_e64 v[189:190], v[100:101], -v[84:85]
	;; [unrolled: 3-line block ×5, first 2 shown]
	v_add_f64_e64 v[197:198], v[98:99], -v[110:111]
	v_add_f64_e64 v[199:200], v[118:119], -v[104:105]
	;; [unrolled: 1-line block ×4, first 2 shown]
	v_fma_f64 v[38:39], v[38:39], -0.5, v[10:11]
	v_add_f64_e64 v[205:206], v[112:113], -v[106:107]
	v_add_f64_e64 v[50:51], v[74:75], -v[46:47]
	;; [unrolled: 1-line block ×5, first 2 shown]
	v_fma_f64 v[36:37], v[36:37], -0.5, v[12:13]
	v_fma_f64 v[12:13], v[32:33], -0.5, v[12:13]
	v_add_f64_e32 v[169:170], v[169:170], v[98:99]
	v_add_f64_e64 v[207:208], v[114:115], -v[122:123]
	v_fma_f64 v[22:23], v[22:23], -0.5, v[8:9]
	v_fma_f64 v[8:9], v[34:35], -0.5, v[8:9]
	v_add_f64_e64 v[34:35], v[90:91], -v[76:77]
	v_fma_f64 v[10:11], v[24:25], -0.5, v[10:11]
	v_add_f64_e64 v[24:25], v[102:103], -v[78:79]
	;; [unrolled: 2-line block ×6, first 2 shown]
	v_add_f64_e32 v[42:43], v[42:43], v[82:83]
	v_add_f64_e32 v[52:53], v[52:53], v[54:55]
	;; [unrolled: 1-line block ×11, first 2 shown]
	v_fma_f64 v[213:214], v[173:174], s[2:3], v[38:39]
	s_wait_alu 0xfffe
	v_fma_f64 v[38:39], v[173:174], s[6:7], v[38:39]
	v_fma_f64 v[217:218], v[175:176], s[2:3], v[36:37]
	;; [unrolled: 1-line block ×3, first 2 shown]
	v_add_f64_e32 v[169:170], v[169:170], v[118:119]
	v_add_f64_e32 v[187:188], v[205:206], v[207:208]
	v_fma_f64 v[209:210], v[48:49], s[2:3], v[22:23]
	v_fma_f64 v[22:23], v[48:49], s[6:7], v[22:23]
	;; [unrolled: 1-line block ×16, first 2 shown]
	v_add_f64_e32 v[40:41], v[165:166], v[40:41]
	v_add_f64_e32 v[165:166], v[189:190], v[191:192]
	v_add_f64_e32 v[42:43], v[42:43], v[124:125]
	v_fma_f64 v[36:37], v[24:25], s[12:13], v[36:37]
	v_fma_f64 v[189:190], v[50:51], s[10:11], v[209:210]
	;; [unrolled: 1-line block ×20, first 2 shown]
	v_add_f64_e32 v[30:31], v[42:43], v[94:95]
	v_add_f64_e32 v[42:43], v[60:61], v[88:89]
	;; [unrolled: 1-line block ×5, first 2 shown]
	ds_load_2addr_b64 v[22:25], v158 offset1:63
	ds_load_2addr_b64 v[12:15], v158 offset0:126 offset1:189
	global_wb scope:SCOPE_SE
	s_wait_dscnt 0x0
	s_barrier_signal -1
	s_barrier_wait -1
	global_inv scope:SCOPE_SE
	v_fma_f64 v[36:37], v[58:59], s[14:15], v[36:37]
	v_fma_f64 v[171:172], v[52:53], s[14:15], v[189:190]
	;; [unrolled: 1-line block ×20, first 2 shown]
	v_and_b32_e32 v28, 0xffff, v65
	v_and_b32_e32 v29, 0xffff, v64
	v_and_b32_e32 v64, 0xffff, v71
	v_and_b32_e32 v65, 0xffff, v133
	v_mul_u32_u24_e32 v71, 0x168, v150
	v_mul_u32_u24_e32 v28, 0x168, v28
	;; [unrolled: 1-line block ×5, first 2 shown]
	v_lshlrev_b32_e32 v133, 3, v151
	v_lshlrev_b32_e32 v150, 3, v152
	v_add3_u32 v165, 0, v28, v68
	v_add3_u32 v153, 0, v29, v69
	;; [unrolled: 1-line block ×5, first 2 shown]
	ds_store_2addr_b64 v165, v[30:31], v[171:172] offset1:9
	ds_store_2addr_b64 v165, v[52:53], v[54:55] offset0:18 offset1:27
	ds_store_b64 v165, v[50:51] offset:288
	ds_store_2addr_b64 v153, v[42:43], v[48:49] offset1:9
	ds_store_2addr_b64 v153, v[38:39], v[40:41] offset0:18 offset1:27
	ds_store_b64 v153, v[34:35] offset:288
	;; [unrolled: 3-line block ×5, first 2 shown]
	global_wb scope:SCOPE_SE
	s_wait_dscnt 0x0
	s_barrier_signal -1
	s_barrier_wait -1
	global_inv scope:SCOPE_SE
	ds_load_2addr_b64 v[32:35], v158 offset1:63
	ds_load_2addr_b64 v[28:31], v158 offset0:126 offset1:225
	ds_load_2addr_b64 v[68:71], v63 offset0:66 offset1:129
	;; [unrolled: 1-line block ×9, first 2 shown]
	ds_load_b64 v[132:133], v158 offset:11808
                                        ; implicit-def: $vgpr128_vgpr129
	s_and_saveexec_b32 s1, s0
	s_cbranch_execz .LBB0_27
; %bb.26:
	v_add_nc_u32_e32 v0, 0x500, v158
	v_add_nc_u32_e32 v1, 0x1380, v158
	v_add_nc_u32_e32 v2, 0x2200, v158
	ds_load_2addr_b64 v[8:11], v0 offset0:29 offset1:254
	ds_load_2addr_b64 v[16:19], v1 offset0:15 offset1:240
	;; [unrolled: 1-line block ×3, first 2 shown]
	ds_load_b64 v[128:129], v158 offset:12312
.LBB0_27:
	s_wait_alu 0xfffe
	s_or_b32 exec_lo, exec_lo, s1
	v_add_f64_e32 v[166:167], v[74:75], v[46:47]
	v_add_f64_e32 v[168:169], v[130:131], v[72:73]
	;; [unrolled: 1-line block ×11, first 2 shown]
	v_add_f64_e64 v[94:95], v[126:127], -v[94:95]
	v_add_f64_e32 v[190:191], v[24:25], v[120:121]
	v_add_f64_e64 v[88:89], v[96:97], -v[88:89]
	v_add_f64_e32 v[96:97], v[12:13], v[116:117]
	v_add_f64_e32 v[192:193], v[14:15], v[140:141]
	;; [unrolled: 1-line block ×3, first 2 shown]
	v_add_f64_e64 v[82:83], v[82:83], -v[124:125]
	v_add_f64_e64 v[80:81], v[80:81], -v[92:93]
	;; [unrolled: 1-line block ×18, first 2 shown]
	global_wb scope:SCOPE_SE
	s_wait_dscnt 0x0
	s_barrier_signal -1
	s_barrier_wait -1
	v_fma_f64 v[166:167], v[166:167], -0.5, v[22:23]
	v_fma_f64 v[22:23], v[168:169], -0.5, v[22:23]
	;; [unrolled: 1-line block ×10, first 2 shown]
	v_add_f64_e64 v[174:175], v[140:141], -v[142:143]
	v_add_f64_e64 v[140:141], v[142:143], -v[140:141]
	;; [unrolled: 1-line block ×4, first 2 shown]
	v_add_f64_e32 v[74:75], v[186:187], v[74:75]
	v_add_f64_e32 v[90:91], v[190:191], v[90:91]
	;; [unrolled: 1-line block ×5, first 2 shown]
	v_add_f64_e64 v[170:171], v[44:45], -v[78:79]
	v_add_f64_e64 v[172:173], v[78:79], -v[44:45]
	;; [unrolled: 1-line block ×6, first 2 shown]
	global_inv scope:SCOPE_SE
	v_add_f64_e32 v[124:125], v[124:125], v[126:127]
	v_add_f64_e32 v[126:127], v[130:131], v[188:189]
	;; [unrolled: 1-line block ×4, first 2 shown]
	v_fma_f64 v[146:147], v[94:95], s[6:7], v[166:167]
	v_fma_f64 v[186:187], v[82:83], s[2:3], v[22:23]
	;; [unrolled: 1-line block ×20, first 2 shown]
	v_add_f64_e32 v[46:47], v[74:75], v[46:47]
	v_add_f64_e32 v[74:75], v[90:91], v[76:77]
	;; [unrolled: 1-line block ×11, first 2 shown]
	v_fma_f64 v[96:97], v[82:83], s[12:13], v[146:147]
	v_fma_f64 v[102:103], v[94:95], s[12:13], v[186:187]
	;; [unrolled: 1-line block ×20, first 2 shown]
	v_add_f64_e32 v[72:73], v[46:47], v[72:73]
	v_add_f64_e32 v[26:27], v[74:75], v[26:27]
	;; [unrolled: 1-line block ×5, first 2 shown]
	v_add_nc_u32_e32 v112, 0x2800, v158
	v_add_nc_u32_e32 v113, 0x800, v158
	v_fma_f64 v[90:91], v[124:125], s[14:15], v[96:97]
	v_fma_f64 v[96:97], v[126:127], s[14:15], v[102:103]
	;; [unrolled: 1-line block ×20, first 2 shown]
	v_add_nc_u32_e32 v104, 0xc00, v158
	v_add_nc_u32_e32 v105, 0x1000, v158
	;; [unrolled: 1-line block ×5, first 2 shown]
                                        ; implicit-def: $vgpr130_vgpr131
	ds_store_2addr_b64 v165, v[72:73], v[90:91] offset1:9
	ds_store_2addr_b64 v165, v[96:97], v[22:23] offset0:18 offset1:27
	ds_store_b64 v165, v[82:83] offset:288
	ds_store_2addr_b64 v153, v[26:27], v[94:95] offset1:9
	ds_store_2addr_b64 v153, v[92:93], v[24:25] offset0:18 offset1:27
	ds_store_b64 v153, v[80:81] offset:288
	;; [unrolled: 3-line block ×5, first 2 shown]
	global_wb scope:SCOPE_SE
	s_wait_dscnt 0x0
	s_barrier_signal -1
	s_barrier_wait -1
	global_inv scope:SCOPE_SE
	ds_load_2addr_b64 v[24:27], v158 offset1:63
	ds_load_2addr_b64 v[20:23], v158 offset0:126 offset1:225
	ds_load_2addr_b64 v[100:103], v104 offset0:66 offset1:129
	;; [unrolled: 1-line block ×9, first 2 shown]
	ds_load_b64 v[134:135], v158 offset:11808
	s_and_saveexec_b32 s1, s0
	s_cbranch_execz .LBB0_29
; %bb.28:
	v_add_nc_u32_e32 v4, 0x500, v158
	v_add_nc_u32_e32 v5, 0x1380, v158
	;; [unrolled: 1-line block ×3, first 2 shown]
	ds_load_2addr_b64 v[12:15], v4 offset0:29 offset1:254
	ds_load_2addr_b64 v[44:47], v5 offset0:15 offset1:240
	;; [unrolled: 1-line block ×3, first 2 shown]
	ds_load_b64 v[130:131], v158 offset:12312
.LBB0_29:
	s_wait_alu 0xfffe
	s_or_b32 exec_lo, exec_lo, s1
	v_mul_lo_u16 v104, 0x6d, v164
	v_cmp_gt_u32_e64 s1, 45, v156
	s_mov_b32 s10, 0xe976ee23
	s_mov_b32 s2, 0x429ad128
	;; [unrolled: 1-line block ×3, first 2 shown]
	v_lshrrev_b16 v104, 8, v104
	s_mov_b32 s6, 0x36b3c0b5
	s_mov_b32 s11, 0x3fe11646
	s_mov_b32 s3, 0xbfebfeb5
	s_mov_b32 s13, 0x3fe948f6
	v_sub_nc_u16 v105, v159, v104
	s_mov_b32 s7, 0x3fac98ee
	s_mov_b32 s22, 0xb247c609
	;; [unrolled: 1-line block ×4, first 2 shown]
	v_lshrrev_b16 v105, 1, v105
	s_mov_b32 s23, 0xbfd5d0dc
	s_mov_b32 s19, 0x3fd5d0dc
	s_mov_b32 s17, 0xbff2aaaa
	s_mov_b32 s15, 0x3fe77f67
	v_and_b32_e32 v105, 0x7f, v105
	s_mov_b32 s21, 0xbfe77f67
	s_wait_alu 0xfffe
	s_mov_b32 s18, s22
	s_mov_b32 s20, s14
	;; [unrolled: 1-line block ×3, first 2 shown]
	v_add_nc_u16 v104, v105, v104
	s_mov_b32 s25, 0xbfdc38aa
	s_delay_alu instid0(VALU_DEP_1) | instskip(SKIP_1) | instid1(VALU_DEP_2)
	v_lshrrev_b16 v142, 5, v104
	v_subrev_nc_u32_e32 v104, 45, v156
	v_mul_lo_u16 v106, v142, 45
	s_delay_alu instid0(VALU_DEP_2) | instskip(NEXT) | instid1(VALU_DEP_2)
	v_cndmask_b32_e64 v143, v104, v156, s1
	v_sub_nc_u16 v106, v159, v106
	v_mov_b32_e32 v105, 0
	s_delay_alu instid0(VALU_DEP_3) | instskip(NEXT) | instid1(VALU_DEP_3)
	v_mul_i32_i24_e32 v104, 6, v143
	v_and_b32_e32 v144, 0xff, v106
	v_mul_lo_u16 v106, 0x6d, v163
	s_delay_alu instid0(VALU_DEP_3) | instskip(NEXT) | instid1(VALU_DEP_3)
	v_lshlrev_b64_e32 v[104:105], 4, v[104:105]
	v_mul_u32_u24_e32 v107, 6, v144
	s_delay_alu instid0(VALU_DEP_3) | instskip(NEXT) | instid1(VALU_DEP_3)
	v_lshrrev_b16 v106, 8, v106
	v_add_co_u32 v104, s1, s4, v104
	s_wait_alu 0xf1ff
	s_delay_alu instid0(VALU_DEP_4) | instskip(NEXT) | instid1(VALU_DEP_3)
	v_add_co_ci_u32_e64 v105, s1, s5, v105, s1
	v_sub_nc_u16 v108, v160, v106
	v_lshlrev_b32_e32 v107, 4, v107
	v_cmp_lt_u32_e64 s1, 44, v156
	s_clause 0x1
	global_load_b128 v[138:141], v[104:105], off offset:688
	global_load_b128 v[175:178], v[104:105], off offset:704
	v_lshrrev_b16 v108, 1, v108
	s_clause 0x4
	global_load_b128 v[148:151], v107, s[4:5] offset:688
	global_load_b128 v[171:174], v[104:105], off offset:672
	global_load_b128 v[163:166], v[104:105], off offset:720
	;; [unrolled: 1-line block ×4, first 2 shown]
	v_and_b32_e32 v108, 0x7f, v108
	s_delay_alu instid0(VALU_DEP_1) | instskip(NEXT) | instid1(VALU_DEP_1)
	v_add_nc_u16 v106, v108, v106
	v_lshrrev_b16 v146, 5, v106
	s_delay_alu instid0(VALU_DEP_1) | instskip(NEXT) | instid1(VALU_DEP_1)
	v_mul_lo_u16 v106, v146, 45
	v_sub_nc_u16 v106, v160, v106
	s_delay_alu instid0(VALU_DEP_1) | instskip(NEXT) | instid1(VALU_DEP_1)
	v_and_b32_e32 v145, 0xff, v106
	v_mul_u32_u24_e32 v106, 6, v145
	s_delay_alu instid0(VALU_DEP_1)
	v_lshlrev_b32_e32 v104, 4, v106
	s_clause 0xa
	global_load_b128 v[183:186], v107, s[4:5] offset:752
	global_load_b128 v[187:190], v104, s[4:5] offset:688
	;; [unrolled: 1-line block ×11, first 2 shown]
	v_mul_lo_u16 v104, 0x6d, v162
	s_delay_alu instid0(VALU_DEP_1) | instskip(NEXT) | instid1(VALU_DEP_1)
	v_lshrrev_b16 v104, 8, v104
	v_sub_nc_u16 v105, v161, v104
	s_delay_alu instid0(VALU_DEP_1) | instskip(NEXT) | instid1(VALU_DEP_1)
	v_lshrrev_b16 v105, 1, v105
	v_and_b32_e32 v105, 0x7f, v105
	s_delay_alu instid0(VALU_DEP_1) | instskip(NEXT) | instid1(VALU_DEP_1)
	v_add_nc_u16 v104, v105, v104
	v_lshrrev_b16 v104, 5, v104
	s_delay_alu instid0(VALU_DEP_1) | instskip(NEXT) | instid1(VALU_DEP_1)
	v_mul_lo_u16 v104, v104, 45
	v_sub_nc_u16 v104, v161, v104
	s_delay_alu instid0(VALU_DEP_1) | instskip(NEXT) | instid1(VALU_DEP_1)
	v_and_b32_e32 v147, 0xff, v104
	v_mul_u32_u24_e32 v104, 6, v147
	s_delay_alu instid0(VALU_DEP_1)
	v_lshlrev_b32_e32 v108, 4, v104
	s_clause 0x5
	global_load_b128 v[104:107], v108, s[4:5] offset:672
	global_load_b128 v[120:123], v108, s[4:5] offset:688
	;; [unrolled: 1-line block ×6, first 2 shown]
	global_wb scope:SCOPE_SE
	s_wait_loadcnt_dscnt 0x0
	s_barrier_signal -1
	s_barrier_wait -1
	global_inv scope:SCOPE_SE
	v_mul_f64_e32 v[136:137], v[100:101], v[140:141]
	v_mul_f64_e32 v[140:141], v[68:69], v[140:141]
	;; [unrolled: 1-line block ×10, first 2 shown]
	v_fma_f64 v[136:137], v[68:69], v[138:139], v[136:137]
	v_fma_f64 v[138:139], v[100:101], v[138:139], -v[140:141]
	v_mul_f64_e32 v[140:141], v[82:83], v[177:178]
	v_mul_f64_e32 v[177:178], v[62:63], v[177:178]
	v_fma_f64 v[68:69], v[70:71], v[148:149], v[152:153]
	v_mul_f64_e32 v[152:153], v[78:79], v[181:182]
	v_mul_f64_e32 v[181:182], v[38:39], v[181:182]
	v_fma_f64 v[100:101], v[102:103], v[148:149], -v[150:151]
	v_mul_f64_e32 v[148:149], v[98:99], v[185:186]
	v_mul_f64_e32 v[150:151], v[80:81], v[189:190]
	;; [unrolled: 1-line block ×4, first 2 shown]
	v_fma_f64 v[48:49], v[48:49], v[163:164], v[227:228]
	v_fma_f64 v[70:71], v[92:93], v[163:164], -v[165:166]
	v_mul_f64_e32 v[162:163], v[88:89], v[201:202]
	v_mul_f64_e32 v[164:165], v[90:91], v[205:206]
	v_fma_f64 v[92:93], v[96:97], v[167:168], -v[169:170]
	v_mul_f64_e32 v[96:97], v[134:135], v[209:210]
	v_fma_f64 v[64:65], v[64:65], v[167:168], v[229:230]
	v_mul_f64_e32 v[166:167], v[94:95], v[213:214]
	v_fma_f64 v[30:31], v[30:31], v[171:172], v[231:232]
	v_fma_f64 v[102:103], v[22:23], v[171:172], -v[173:174]
	v_mul_f64_e32 v[168:169], v[50:51], v[213:214]
	v_mul_f64_e32 v[170:171], v[66:67], v[185:186]
	;; [unrolled: 1-line block ×4, first 2 shown]
	v_fma_f64 v[22:23], v[62:63], v[175:176], v[140:141]
	v_fma_f64 v[62:63], v[82:83], v[175:176], -v[177:178]
	v_mul_f64_e32 v[174:175], v[52:53], v[201:202]
	v_fma_f64 v[82:83], v[38:39], v[179:180], v[152:153]
	v_fma_f64 v[140:141], v[78:79], v[179:180], -v[181:182]
	v_mul_f64_e32 v[152:153], v[84:85], v[217:218]
	v_mul_f64_e32 v[176:177], v[40:41], v[217:218]
	v_fma_f64 v[38:39], v[66:67], v[183:184], v[148:149]
	v_mul_f64_e32 v[148:149], v[60:61], v[189:190]
	v_mul_f64_e32 v[178:179], v[42:43], v[221:222]
	v_fma_f64 v[60:61], v[60:61], v[187:188], v[150:151]
	;; [unrolled: 3-line block ×3, first 2 shown]
	v_fma_f64 v[56:57], v[58:59], v[195:196], v[235:236]
	v_fma_f64 v[58:59], v[52:53], v[199:200], v[162:163]
	v_mul_f64_e32 v[162:163], v[132:133], v[209:210]
	v_fma_f64 v[52:53], v[54:55], v[203:204], v[164:165]
	v_mul_f64_e32 v[164:165], v[86:87], v[221:222]
	v_mul_f64_e32 v[189:190], v[76:77], v[225:226]
	v_fma_f64 v[54:55], v[132:133], v[207:208], v[96:97]
	v_fma_f64 v[50:51], v[50:51], v[211:212], v[166:167]
	v_fma_f64 v[78:79], v[94:95], v[211:212], -v[168:169]
	v_fma_f64 v[94:95], v[98:99], v[183:184], -v[170:171]
	;; [unrolled: 1-line block ×3, first 2 shown]
	v_add_f64_e32 v[98:99], v[30:31], v[64:65]
	v_fma_f64 v[74:75], v[74:75], v[195:196], -v[185:186]
	v_add_f64_e64 v[166:167], v[102:103], -v[92:93]
	v_add_f64_e32 v[168:169], v[22:23], v[48:49]
	v_fma_f64 v[88:89], v[88:89], v[199:200], -v[174:175]
	v_add_f64_e32 v[132:133], v[136:137], v[82:83]
	v_fma_f64 v[40:41], v[40:41], v[215:216], v[152:153]
	v_fma_f64 v[72:73], v[84:85], v[215:216], -v[176:177]
	v_fma_f64 v[84:85], v[80:81], v[187:188], -v[148:149]
	;; [unrolled: 1-line block ×5, first 2 shown]
	v_add_f64_e32 v[148:149], v[66:67], v[38:39]
	v_add_f64_e32 v[150:151], v[68:69], v[58:59]
	v_fma_f64 v[90:91], v[134:135], v[207:208], -v[162:163]
	v_add_f64_e32 v[152:153], v[60:61], v[52:53]
	v_fma_f64 v[42:43], v[42:43], v[219:220], v[164:165]
	v_fma_f64 v[36:37], v[36:37], v[223:224], v[189:190]
	v_add_f64_e32 v[134:135], v[56:57], v[54:55]
	v_add_f64_e64 v[162:163], v[138:139], -v[140:141]
	v_add_f64_e64 v[164:165], v[70:71], -v[62:63]
	;; [unrolled: 1-line block ×5, first 2 shown]
	v_add_f64_e32 v[172:173], v[132:133], v[98:99]
	v_add_f64_e64 v[198:199], v[168:169], -v[132:133]
	v_add_f64_e32 v[182:183], v[40:41], v[50:51]
	v_add_f64_e64 v[174:175], v[78:79], -v[72:73]
	v_add_f64_e64 v[98:99], v[132:133], -v[98:99]
	;; [unrolled: 1-line block ×4, first 2 shown]
	v_add_f64_e32 v[184:185], v[150:151], v[148:149]
	v_add_f64_e64 v[186:187], v[74:75], -v[90:91]
	v_add_f64_e32 v[188:189], v[42:43], v[36:37]
	v_add_f64_e32 v[190:191], v[152:153], v[134:135]
	v_add_f64_e64 v[194:195], v[162:163], -v[166:167]
	v_add_f64_e64 v[192:193], v[164:165], -v[162:163]
	v_add_f64_e32 v[162:163], v[164:165], v[162:163]
	v_add_f64_e64 v[164:165], v[166:167], -v[164:165]
	v_mul_f64_e32 v[196:197], s[12:13], v[196:197]
	v_add_f64_e64 v[200:201], v[170:171], -v[176:177]
	v_add_f64_e32 v[168:169], v[168:169], v[172:173]
	v_mul_f64_e32 v[210:211], s[6:7], v[198:199]
	v_add_f64_e64 v[204:205], v[148:149], -v[182:183]
	v_add_f64_e64 v[172:173], v[174:175], -v[170:171]
	v_add_f64_e32 v[132:133], v[174:175], v[170:171]
	v_add_f64_e64 v[174:175], v[176:177], -v[174:175]
	v_add_f64_e64 v[148:149], v[150:151], -v[148:149]
	;; [unrolled: 1-line block ×3, first 2 shown]
	v_add_f64_e32 v[170:171], v[180:181], v[178:179]
	v_add_f64_e32 v[184:185], v[182:183], v[184:185]
	v_add_f64_e64 v[182:183], v[182:183], -v[150:151]
	v_add_f64_e64 v[206:207], v[178:179], -v[186:187]
	;; [unrolled: 1-line block ×4, first 2 shown]
	v_add_f64_e32 v[190:191], v[188:189], v[190:191]
	v_add_f64_e64 v[188:189], v[188:189], -v[152:153]
	v_mul_f64_e32 v[178:179], s[10:11], v[192:193]
	v_mul_f64_e32 v[192:193], s[2:3], v[194:195]
	v_add_f64_e64 v[134:135], v[152:153], -v[134:135]
	v_add_f64_e32 v[162:163], v[162:163], v[166:167]
	v_mul_f64_e32 v[212:213], s[2:3], v[200:201]
	v_add_f64_e32 v[32:33], v[32:33], v[168:169]
	v_mul_f64_e32 v[204:205], s[12:13], v[204:205]
	v_mul_f64_e32 v[172:173], s[10:11], v[172:173]
	v_add_f64_e32 v[132:133], v[132:133], v[176:177]
	v_mul_f64_e32 v[202:203], s[10:11], v[202:203]
	v_add_f64_e32 v[166:167], v[170:171], v[186:187]
	s_wait_alu 0xfffe
	v_fma_f64 v[186:187], v[98:99], s[20:21], -v[196:197]
	v_add_f64_e32 v[34:35], v[34:35], v[184:185]
	v_mul_f64_e32 v[150:151], s[6:7], v[182:183]
	v_mul_f64_e32 v[214:215], s[2:3], v[206:207]
	v_fma_f64 v[98:99], v[98:99], s[14:15], -v[210:211]
	v_mul_f64_e32 v[208:209], s[12:13], v[208:209]
	v_add_f64_e32 v[28:29], v[28:29], v[190:191]
	v_mul_f64_e32 v[152:153], s[6:7], v[188:189]
	v_fma_f64 v[170:171], v[194:195], s[2:3], -v[178:179]
	v_fma_f64 v[176:177], v[164:165], s[22:23], v[178:179]
	v_fma_f64 v[164:165], v[164:165], s[18:19], -v[192:193]
	v_fma_f64 v[178:179], v[198:199], s[6:7], v[196:197]
	v_mul_f64_e32 v[210:211], v[6:7], v[126:127]
	v_mul_f64_e32 v[126:127], v[2:3], v[126:127]
	v_fma_f64 v[168:169], v[168:169], s[16:17], v[32:33]
	v_fma_f64 v[182:183], v[182:183], s[6:7], v[204:205]
	v_fma_f64 v[192:193], v[200:201], s[2:3], -v[172:173]
	v_fma_f64 v[172:173], v[174:175], s[22:23], v[172:173]
	v_fma_f64 v[174:175], v[174:175], s[18:19], -v[212:213]
	v_fma_f64 v[196:197], v[148:149], s[20:21], -v[204:205]
	v_mul_f64_e32 v[200:201], v[44:45], v[122:123]
	v_mul_f64_e32 v[122:123], v[16:17], v[122:123]
	v_fma_f64 v[194:195], v[180:181], s[22:23], v[202:203]
	v_mul_f64_e32 v[204:205], v[18:19], v[118:119]
	v_mul_f64_e32 v[212:213], v[130:131], v[110:111]
	v_fma_f64 v[184:185], v[184:185], s[16:17], v[34:35]
	v_fma_f64 v[148:149], v[148:149], s[14:15], -v[150:151]
	v_fma_f64 v[150:151], v[206:207], s[2:3], -v[202:203]
	;; [unrolled: 1-line block ×3, first 2 shown]
	v_fma_f64 v[188:189], v[188:189], s[6:7], v[208:209]
	v_fma_f64 v[190:191], v[190:191], s[16:17], v[28:29]
	v_fma_f64 v[198:199], v[134:135], s[20:21], -v[208:209]
	v_fma_f64 v[134:135], v[134:135], s[14:15], -v[152:153]
	v_mul_f64_e32 v[152:153], v[14:15], v[106:107]
	v_mul_f64_e32 v[106:107], v[10:11], v[106:107]
	;; [unrolled: 1-line block ×5, first 2 shown]
	v_fma_f64 v[176:177], v[162:163], s[24:25], v[176:177]
	v_fma_f64 v[170:171], v[162:163], s[24:25], v[170:171]
	;; [unrolled: 1-line block ×3, first 2 shown]
	v_add_f64_e32 v[164:165], v[178:179], v[168:169]
	v_add_f64_e32 v[178:179], v[186:187], v[168:169]
	;; [unrolled: 1-line block ×3, first 2 shown]
	v_fma_f64 v[186:187], v[132:133], s[24:25], v[192:193]
	v_fma_f64 v[172:173], v[132:133], s[24:25], v[172:173]
	;; [unrolled: 1-line block ×3, first 2 shown]
	v_fma_f64 v[118:119], v[44:45], v[120:121], -v[122:123]
	v_fma_f64 v[122:123], v[128:129], v[108:109], v[212:213]
	v_add_f64_e32 v[174:175], v[182:183], v[184:185]
	v_add_f64_e32 v[182:183], v[196:197], v[184:185]
	;; [unrolled: 1-line block ×3, first 2 shown]
	v_fma_f64 v[184:185], v[166:167], s[24:25], v[194:195]
	v_fma_f64 v[150:151], v[166:167], s[24:25], v[150:151]
	;; [unrolled: 1-line block ×3, first 2 shown]
	v_add_f64_e32 v[180:181], v[188:189], v[190:191]
	v_add_f64_e32 v[188:189], v[198:199], v[190:191]
	;; [unrolled: 1-line block ×3, first 2 shown]
	v_mul_f64_e32 v[190:191], v[128:129], v[110:111]
	v_fma_f64 v[98:99], v[10:11], v[104:105], v[152:153]
	v_fma_f64 v[114:115], v[14:15], v[104:105], -v[106:107]
	v_fma_f64 v[104:105], v[16:17], v[120:121], v[200:201]
	v_fma_f64 v[106:107], v[18:19], v[116:117], v[202:203]
	v_fma_f64 v[116:117], v[46:47], v[116:117], -v[204:205]
	v_fma_f64 v[110:111], v[0:1], v[112:113], v[206:207]
	v_fma_f64 v[112:113], v[4:5], v[112:113], -v[208:209]
	;; [unrolled: 2-line block ×3, first 2 shown]
	v_and_b32_e32 v126, 0xffff, v142
	v_and_b32_e32 v127, 0xffff, v146
	s_wait_alu 0xf1ff
	v_cndmask_b32_e64 v128, 0, 0x9d8, s1
	v_lshlrev_b32_e32 v129, 3, v143
	v_lshlrev_b32_e32 v142, 3, v144
	;; [unrolled: 1-line block ×3, first 2 shown]
	v_add_f64_e32 v[0:1], v[176:177], v[164:165]
	v_add_f64_e32 v[2:3], v[162:163], v[178:179]
	v_add_f64_e64 v[4:5], v[168:169], -v[170:171]
	v_add_f64_e32 v[6:7], v[170:171], v[168:169]
	v_add_f64_e64 v[10:11], v[178:179], -v[162:163]
	v_add_f64_e64 v[14:15], v[164:165], -v[176:177]
	v_add_f64_e32 v[16:17], v[172:173], v[174:175]
	v_add_f64_e32 v[18:19], v[132:133], v[182:183]
	v_add_f64_e64 v[44:45], v[148:149], -v[186:187]
	v_add_f64_e32 v[46:47], v[186:187], v[148:149]
	v_add_f64_e64 v[132:133], v[182:183], -v[132:133]
	v_add_f64_e64 v[148:149], v[174:175], -v[172:173]
	v_add_f64_e32 v[152:153], v[184:185], v[180:181]
	v_add_f64_e32 v[162:163], v[166:167], v[188:189]
	v_add_f64_e64 v[164:165], v[134:135], -v[150:151]
	v_fma_f64 v[108:109], v[130:131], v[108:109], -v[190:191]
	v_add_f64_e32 v[134:135], v[150:151], v[134:135]
	v_add_f64_e64 v[150:151], v[188:189], -v[166:167]
	v_add_f64_e64 v[166:167], v[180:181], -v[184:185]
	v_mul_u32_u24_e32 v130, 0x9d8, v126
	v_mul_u32_u24_e32 v131, 0x9d8, v127
	v_add3_u32 v127, 0, v128, v129
	v_lshl_add_u32 v126, v147, 3, 0
	s_delay_alu instid0(VALU_DEP_4) | instskip(NEXT) | instid1(VALU_DEP_4)
	v_add3_u32 v129, 0, v130, v142
	v_add3_u32 v128, 0, v131, v143
	ds_store_2addr_b64 v127, v[32:33], v[0:1] offset1:45
	ds_store_2addr_b64 v127, v[2:3], v[4:5] offset0:90 offset1:135
	ds_store_2addr_b64 v127, v[6:7], v[10:11] offset0:180 offset1:225
	ds_store_b64 v127, v[14:15] offset:2160
	ds_store_2addr_b64 v129, v[34:35], v[16:17] offset1:45
	ds_store_2addr_b64 v129, v[18:19], v[44:45] offset0:90 offset1:135
	ds_store_2addr_b64 v129, v[46:47], v[132:133] offset0:180 offset1:225
	ds_store_b64 v129, v[148:149] offset:2160
	;; [unrolled: 4-line block ×3, first 2 shown]
	s_and_saveexec_b32 s1, s0
	s_cbranch_execz .LBB0_31
; %bb.30:
	v_add_f64_e32 v[0:1], v[104:105], v[120:121]
	v_add_f64_e32 v[2:3], v[98:99], v[122:123]
	v_add_f64_e64 v[4:5], v[112:113], -v[116:117]
	v_add_f64_e64 v[6:7], v[118:119], -v[124:125]
	v_add_f64_e32 v[10:11], v[106:107], v[110:111]
	v_add_f64_e64 v[14:15], v[114:115], -v[108:109]
	v_add_f64_e32 v[16:17], v[0:1], v[2:3]
	s_delay_alu instid0(VALU_DEP_4) | instskip(NEXT) | instid1(VALU_DEP_4)
	v_add_f64_e64 v[18:19], v[4:5], -v[6:7]
	v_add_f64_e64 v[28:29], v[2:3], -v[10:11]
	s_delay_alu instid0(VALU_DEP_4)
	v_add_f64_e64 v[32:33], v[6:7], -v[14:15]
	v_add_f64_e32 v[6:7], v[4:5], v[6:7]
	v_add_f64_e64 v[4:5], v[14:15], -v[4:5]
	v_add_f64_e32 v[16:17], v[10:11], v[16:17]
	v_add_f64_e64 v[10:11], v[10:11], -v[0:1]
	v_add_f64_e64 v[0:1], v[0:1], -v[2:3]
	v_mul_f64_e32 v[2:3], s[10:11], v[18:19]
	v_mul_f64_e32 v[18:19], s[12:13], v[28:29]
	;; [unrolled: 1-line block ×3, first 2 shown]
	v_add_f64_e32 v[6:7], v[6:7], v[14:15]
	v_add_f64_e32 v[8:9], v[8:9], v[16:17]
	v_mul_f64_e32 v[34:35], s[6:7], v[10:11]
	v_fma_f64 v[14:15], v[4:5], s[22:23], v[2:3]
	v_fma_f64 v[10:11], v[10:11], s[6:7], v[18:19]
	v_fma_f64 v[44:45], v[0:1], s[20:21], -v[18:19]
	v_fma_f64 v[4:5], v[4:5], s[18:19], -v[28:29]
	;; [unrolled: 1-line block ×3, first 2 shown]
	v_fma_f64 v[16:17], v[16:17], s[16:17], v[8:9]
	v_fma_f64 v[0:1], v[0:1], s[14:15], -v[34:35]
	v_fma_f64 v[14:15], v[6:7], s[24:25], v[14:15]
	v_fma_f64 v[4:5], v[6:7], s[24:25], v[4:5]
	;; [unrolled: 1-line block ×3, first 2 shown]
	v_add_f64_e32 v[10:11], v[10:11], v[16:17]
	v_add_f64_e32 v[6:7], v[44:45], v[16:17]
	;; [unrolled: 1-line block ×3, first 2 shown]
	s_delay_alu instid0(VALU_DEP_3) | instskip(NEXT) | instid1(VALU_DEP_3)
	v_add_f64_e32 v[28:29], v[14:15], v[10:11]
	v_add_f64_e64 v[16:17], v[6:7], -v[4:5]
	s_delay_alu instid0(VALU_DEP_3)
	v_add_f64_e64 v[18:19], v[0:1], -v[2:3]
	v_add_f64_e32 v[4:5], v[4:5], v[6:7]
	v_add_f64_e32 v[0:1], v[2:3], v[0:1]
	v_add_f64_e64 v[2:3], v[10:11], -v[14:15]
	v_add_nc_u32_e32 v6, 0x2400, v126
	v_add_nc_u32_e32 v7, 0x2800, v126
	ds_store_2addr_b64 v6, v[8:9], v[28:29] offset0:108 offset1:153
	ds_store_2addr_b64 v7, v[4:5], v[18:19] offset0:70 offset1:115
	;; [unrolled: 1-line block ×3, first 2 shown]
	ds_store_b64 v126, v[2:3] offset:12240
.LBB0_31:
	s_wait_alu 0xfffe
	s_or_b32 exec_lo, exec_lo, s1
	v_add_f64_e32 v[0:1], v[102:103], v[92:93]
	v_add_f64_e32 v[2:3], v[138:139], v[140:141]
	;; [unrolled: 1-line block ×7, first 2 shown]
	v_add_f64_e64 v[16:17], v[136:137], -v[82:83]
	v_add_f64_e64 v[18:19], v[48:49], -v[22:23]
	;; [unrolled: 1-line block ×3, first 2 shown]
	v_add_f64_e32 v[30:31], v[72:73], v[78:79]
	v_add_f64_e64 v[32:33], v[68:69], -v[58:59]
	v_add_f64_e64 v[34:35], v[50:51], -v[40:41]
	v_add_f64_e64 v[38:39], v[66:67], -v[38:39]
	v_add_f64_e64 v[44:45], v[60:61], -v[52:53]
	v_add_f64_e32 v[46:47], v[80:81], v[76:77]
	v_add_f64_e64 v[36:37], v[36:37], -v[42:43]
	v_add_f64_e64 v[42:43], v[56:57], -v[54:55]
	global_wb scope:SCOPE_SE
	s_wait_dscnt 0x0
	s_barrier_signal -1
	s_barrier_wait -1
	global_inv scope:SCOPE_SE
	v_add_f64_e32 v[28:29], v[2:3], v[0:1]
	v_add_f64_e32 v[40:41], v[6:7], v[4:5]
	;; [unrolled: 1-line block ×3, first 2 shown]
	v_add_f64_e64 v[50:51], v[0:1], -v[14:15]
	v_add_f64_e64 v[52:53], v[14:15], -v[2:3]
	;; [unrolled: 1-line block ×8, first 2 shown]
	v_add_f64_e32 v[2:3], v[18:19], v[16:17]
	v_add_f64_e64 v[16:17], v[22:23], -v[18:19]
	v_add_f64_e64 v[64:65], v[36:37], -v[44:45]
	v_add_f64_e64 v[66:67], v[44:45], -v[42:43]
	v_add_f64_e32 v[18:19], v[34:35], v[32:33]
	v_add_f64_e32 v[32:33], v[36:37], v[44:45]
	v_add_f64_e64 v[34:35], v[38:39], -v[34:35]
	v_add_f64_e32 v[14:15], v[14:15], v[28:29]
	v_add_f64_e64 v[28:29], v[4:5], -v[30:31]
	;; [unrolled: 2-line block ×4, first 2 shown]
	v_mul_f64_e32 v[44:45], s[12:13], v[50:51]
	v_add_f64_e64 v[4:5], v[6:7], -v[4:5]
	v_mul_f64_e32 v[6:7], s[10:11], v[54:55]
	v_mul_f64_e32 v[50:51], s[6:7], v[52:53]
	;; [unrolled: 1-line block ×5, first 2 shown]
	v_add_f64_e64 v[8:9], v[10:11], -v[8:9]
	v_add_f64_e32 v[2:3], v[2:3], v[22:23]
	v_add_f64_e32 v[18:19], v[18:19], v[38:39]
	;; [unrolled: 1-line block ×3, first 2 shown]
	v_mul_f64_e32 v[24:25], s[12:13], v[28:29]
	v_add_f64_e32 v[72:73], v[26:27], v[30:31]
	v_mul_f64_e32 v[28:29], s[6:7], v[58:59]
	v_add_f64_e64 v[26:27], v[42:43], -v[36:37]
	v_mul_f64_e32 v[36:37], s[12:13], v[40:41]
	v_mul_f64_e32 v[40:41], s[10:11], v[64:65]
	;; [unrolled: 1-line block ×3, first 2 shown]
	v_add_f64_e32 v[74:75], v[20:21], v[48:49]
	v_mul_f64_e32 v[10:11], s[6:7], v[46:47]
	v_fma_f64 v[22:23], v[52:53], s[6:7], v[44:45]
	v_fma_f64 v[38:39], v[16:17], s[22:23], v[6:7]
	v_add_f64_e32 v[20:21], v[32:33], v[42:43]
	v_fma_f64 v[32:33], v[0:1], s[14:15], -v[50:51]
	v_fma_f64 v[0:1], v[0:1], s[20:21], -v[44:45]
	;; [unrolled: 1-line block ×4, first 2 shown]
	v_fma_f64 v[44:45], v[34:35], s[22:23], v[60:61]
	v_fma_f64 v[50:51], v[62:63], s[2:3], -v[60:61]
	v_fma_f64 v[34:35], v[34:35], s[18:19], -v[70:71]
	v_fma_f64 v[14:15], v[14:15], s[16:17], v[68:69]
	v_fma_f64 v[42:43], v[58:59], s[6:7], v[24:25]
	;; [unrolled: 1-line block ×3, first 2 shown]
	v_fma_f64 v[28:29], v[4:5], s[14:15], -v[28:29]
	v_fma_f64 v[4:5], v[4:5], s[20:21], -v[24:25]
	v_fma_f64 v[24:25], v[46:47], s[6:7], v[36:37]
	v_fma_f64 v[46:47], v[26:27], s[22:23], v[40:41]
	v_fma_f64 v[40:41], v[66:67], s[2:3], -v[40:41]
	v_fma_f64 v[26:27], v[26:27], s[18:19], -v[64:65]
	v_fma_f64 v[48:49], v[48:49], s[16:17], v[74:75]
	v_fma_f64 v[36:37], v[8:9], s[20:21], -v[36:37]
	v_fma_f64 v[8:9], v[8:9], s[14:15], -v[10:11]
	v_fma_f64 v[10:11], v[2:3], s[24:25], v[38:39]
	v_fma_f64 v[6:7], v[2:3], s[24:25], v[6:7]
	v_fma_f64 v[16:17], v[2:3], s[24:25], v[16:17]
	v_add_f64_e32 v[22:23], v[22:23], v[14:15]
	v_add_f64_e32 v[38:39], v[0:1], v[14:15]
	v_add_f64_e32 v[14:15], v[32:33], v[14:15]
	v_fma_f64 v[32:33], v[18:19], s[24:25], v[44:45]
	v_fma_f64 v[44:45], v[18:19], s[24:25], v[50:51]
	v_fma_f64 v[18:19], v[18:19], s[24:25], v[34:35]
	v_add_f64_e32 v[34:35], v[42:43], v[30:31]
	v_add_f64_e32 v[4:5], v[4:5], v[30:31]
	v_add_f64_e32 v[28:29], v[28:29], v[30:31]
	;; [unrolled: 6-line block ×3, first 2 shown]
	v_add_nc_u32_e32 v36, 0x400, v158
	v_add_nc_u32_e32 v37, 0x1000, v158
	;; [unrolled: 1-line block ×5, first 2 shown]
	ds_load_2addr_b64 v[0:3], v158 offset1:63
	v_add_f64_e64 v[50:51], v[22:23], -v[10:11]
	v_add_f64_e64 v[52:53], v[38:39], -v[16:17]
	v_add_f64_e32 v[54:55], v[6:7], v[14:15]
	v_add_f64_e64 v[56:57], v[14:15], -v[6:7]
	v_add_f64_e32 v[58:59], v[16:17], v[38:39]
	v_add_f64_e32 v[60:61], v[10:11], v[22:23]
	v_add_f64_e64 v[62:63], v[34:35], -v[32:33]
	v_add_f64_e64 v[64:65], v[4:5], -v[18:19]
	v_add_f64_e32 v[70:71], v[44:45], v[28:29]
	v_add_f64_e64 v[76:77], v[28:29], -v[44:45]
	v_add_f64_e32 v[78:79], v[18:19], v[4:5]
	v_add_f64_e32 v[80:81], v[32:33], v[34:35]
	v_add_f64_e64 v[82:83], v[24:25], -v[30:31]
	v_add_f64_e64 v[84:85], v[26:27], -v[20:21]
	v_add_f64_e32 v[90:91], v[20:21], v[26:27]
	v_add_f64_e32 v[92:93], v[30:31], v[24:25]
	v_add_nc_u32_e32 v14, 0x2400, v158
	v_add_nc_u32_e32 v26, 0x800, v158
	;; [unrolled: 1-line block ×5, first 2 shown]
	v_add_f64_e32 v[86:87], v[40:41], v[8:9]
	v_add_f64_e64 v[88:89], v[8:9], -v[40:41]
	ds_load_2addr_b64 v[4:7], v158 offset0:126 offset1:189
	ds_load_b64 v[66:67], v158 offset:12096
	ds_load_2addr_b64 v[8:11], v36 offset0:124 offset1:187
	ds_load_2addr_b64 v[18:21], v37 offset0:118 offset1:181
	;; [unrolled: 1-line block ×10, first 2 shown]
	global_wb scope:SCOPE_SE
	s_wait_dscnt 0x0
	s_barrier_signal -1
	s_barrier_wait -1
	global_inv scope:SCOPE_SE
	ds_store_2addr_b64 v127, v[68:69], v[50:51] offset1:45
	ds_store_2addr_b64 v127, v[52:53], v[54:55] offset0:90 offset1:135
	ds_store_2addr_b64 v127, v[56:57], v[58:59] offset0:180 offset1:225
	ds_store_b64 v127, v[60:61] offset:2160
	ds_store_2addr_b64 v129, v[72:73], v[62:63] offset1:45
	ds_store_2addr_b64 v129, v[64:65], v[70:71] offset0:90 offset1:135
	ds_store_2addr_b64 v129, v[76:77], v[78:79] offset0:180 offset1:225
	ds_store_b64 v129, v[80:81] offset:2160
	;; [unrolled: 4-line block ×3, first 2 shown]
	s_and_saveexec_b32 s1, s0
	s_cbranch_execz .LBB0_33
; %bb.32:
	v_add_f64_e32 v[50:51], v[114:115], v[108:109]
	v_add_f64_e32 v[52:53], v[118:119], v[124:125]
	;; [unrolled: 1-line block ×3, first 2 shown]
	v_add_f64_e64 v[56:57], v[104:105], -v[120:121]
	v_add_f64_e64 v[58:59], v[110:111], -v[106:107]
	;; [unrolled: 1-line block ×3, first 2 shown]
	s_mov_b32 s2, 0x37e14327
	s_mov_b32 s3, 0x3fe948f6
	;; [unrolled: 1-line block ×6, first 2 shown]
	v_add_f64_e32 v[62:63], v[52:53], v[50:51]
	v_add_f64_e64 v[64:65], v[50:51], -v[54:55]
	v_add_f64_e64 v[68:69], v[54:55], -v[52:53]
	;; [unrolled: 1-line block ×5, first 2 shown]
	v_add_f64_e32 v[52:53], v[58:59], v[56:57]
	v_add_f64_e64 v[56:57], v[60:61], -v[58:59]
	v_add_f64_e32 v[54:55], v[54:55], v[62:63]
	s_wait_alu 0xfffe
	v_mul_f64_e32 v[58:59], s[2:3], v[64:65]
	s_mov_b32 s2, 0x429ad128
	v_mul_f64_e32 v[64:65], s[10:11], v[70:71]
	s_mov_b32 s3, 0xbfebfeb5
	v_mul_f64_e32 v[62:63], s[6:7], v[68:69]
	s_wait_alu 0xfffe
	v_mul_f64_e32 v[70:71], s[2:3], v[72:73]
	s_mov_b32 s10, 0xaaaaaaaa
	s_mov_b32 s11, 0xbff2aaaa
	v_add_f64_e32 v[52:53], v[52:53], v[60:61]
	v_add_f64_e32 v[12:13], v[12:13], v[54:55]
	v_fma_f64 v[60:61], v[68:69], s[6:7], v[58:59]
	v_fma_f64 v[68:69], v[56:57], s[14:15], v[64:65]
	s_mov_b32 s15, 0x3fd5d0dc
	v_fma_f64 v[62:63], v[50:51], s[12:13], -v[62:63]
	s_mov_b32 s13, 0xbfe77f67
	v_fma_f64 v[64:65], v[72:73], s[2:3], -v[64:65]
	s_wait_alu 0xfffe
	v_fma_f64 v[56:57], v[56:57], s[14:15], -v[70:71]
	v_fma_f64 v[50:51], v[50:51], s[12:13], -v[58:59]
	s_mov_b32 s2, 0x37c3f68c
	s_mov_b32 s3, 0xbfdc38aa
	v_fma_f64 v[54:55], v[54:55], s[10:11], v[12:13]
	s_wait_alu 0xfffe
	v_fma_f64 v[58:59], v[52:53], s[2:3], v[68:69]
	v_fma_f64 v[64:65], v[52:53], s[2:3], v[64:65]
	;; [unrolled: 1-line block ×3, first 2 shown]
	s_delay_alu instid0(VALU_DEP_4) | instskip(SKIP_2) | instid1(VALU_DEP_3)
	v_add_f64_e32 v[56:57], v[60:61], v[54:55]
	v_add_f64_e32 v[50:51], v[50:51], v[54:55]
	;; [unrolled: 1-line block ×3, first 2 shown]
	v_add_f64_e64 v[60:61], v[56:57], -v[58:59]
	s_delay_alu instid0(VALU_DEP_3) | instskip(NEXT) | instid1(VALU_DEP_3)
	v_add_f64_e64 v[62:63], v[50:51], -v[52:53]
	v_add_f64_e32 v[68:69], v[64:65], v[54:55]
	v_add_f64_e64 v[54:55], v[54:55], -v[64:65]
	v_add_f64_e32 v[50:51], v[52:53], v[50:51]
	v_add_f64_e32 v[52:53], v[58:59], v[56:57]
	v_add_nc_u32_e32 v56, 0x2400, v126
	v_add_nc_u32_e32 v57, 0x2800, v126
	ds_store_2addr_b64 v56, v[12:13], v[60:61] offset0:108 offset1:153
	ds_store_2addr_b64 v57, v[62:63], v[68:69] offset0:70 offset1:115
	;; [unrolled: 1-line block ×3, first 2 shown]
	ds_store_b64 v126, v[52:53] offset:12240
.LBB0_33:
	s_wait_alu 0xfffe
	s_or_b32 exec_lo, exec_lo, s1
	global_wb scope:SCOPE_SE
	s_wait_dscnt 0x0
	s_barrier_signal -1
	s_barrier_wait -1
	global_inv scope:SCOPE_SE
	s_and_saveexec_b32 s0, vcc_lo
	s_cbranch_execz .LBB0_35
; %bb.34:
	v_dual_mov_b32 v13, 0 :: v_dual_lshlrev_b32 v12, 2, v157
	v_add_nc_u32_e32 v136, 0xc00, v158
	v_add_nc_u32_e32 v148, 0x1400, v158
	;; [unrolled: 1-line block ×3, first 2 shown]
	v_mul_hi_u32 v189, 0xa01a01a1, v157
	v_lshlrev_b64_e32 v[50:51], 4, v[12:13]
	v_lshlrev_b32_e32 v12, 2, v161
	v_add_nc_u32_e32 v167, 0x800, v158
	v_add_nc_u32_e32 v171, 0x1c00, v158
	;; [unrolled: 1-line block ×4, first 2 shown]
	v_lshlrev_b64_e32 v[52:53], 4, v[12:13]
	v_lshlrev_b32_e32 v12, 2, v160
	v_add_co_u32 v58, vcc_lo, s4, v50
	s_wait_alu 0xfffd
	v_add_co_ci_u32_e32 v59, vcc_lo, s5, v51, vcc_lo
	s_delay_alu instid0(VALU_DEP_3)
	v_lshlrev_b64_e32 v[62:63], 4, v[12:13]
	v_add_co_u32 v60, vcc_lo, s4, v52
	s_wait_alu 0xfffd
	v_add_co_ci_u32_e32 v61, vcc_lo, s5, v53, vcc_lo
	s_clause 0x1
	global_load_b128 v[50:53], v[58:59], off offset:5024
	global_load_b128 v[54:57], v[60:61], off offset:5024
	v_add_co_u32 v62, vcc_lo, s4, v62
	s_wait_alu 0xfffd
	v_add_co_ci_u32_e32 v63, vcc_lo, s5, v63, vcc_lo
	s_clause 0x9
	global_load_b128 v[68:71], v[58:59], off offset:5040
	global_load_b128 v[72:75], v[58:59], off offset:4992
	;; [unrolled: 1-line block ×10, first 2 shown]
	v_lshlrev_b32_e32 v12, 2, v159
	v_add_nc_u32_e32 v159, 0x2800, v158
	v_sub_nc_u32_e32 v157, v157, v189
	s_mov_b32 s2, 0x134454ff
	s_mov_b32 s3, 0x3fee6f0e
	v_lshlrev_b64_e32 v[64:65], 4, v[12:13]
	v_lshlrev_b32_e32 v12, 2, v156
	s_mov_b32 s11, 0xbfee6f0e
	s_wait_alu 0xfffe
	s_mov_b32 s10, s2
	s_mov_b32 s0, 0x4755a5e
	;; [unrolled: 1-line block ×3, first 2 shown]
	v_lshlrev_b64_e32 v[116:117], 4, v[12:13]
	v_add_co_u32 v112, vcc_lo, s4, v64
	s_wait_alu 0xfffd
	v_add_co_ci_u32_e32 v113, vcc_lo, s5, v65, vcc_lo
	s_clause 0x3
	global_load_b128 v[104:107], v[112:113], off offset:5008
	global_load_b128 v[62:65], v[112:113], off offset:4992
	;; [unrolled: 1-line block ×4, first 2 shown]
	v_add_co_u32 v128, vcc_lo, s4, v116
	s_wait_alu 0xfffd
	v_add_co_ci_u32_e32 v129, vcc_lo, s5, v117, vcc_lo
	s_clause 0x3
	global_load_b128 v[116:119], v[128:129], off offset:5008
	global_load_b128 v[120:123], v[128:129], off offset:4992
	global_load_b128 v[124:127], v[128:129], off offset:5024
	global_load_b128 v[128:131], v[128:129], off offset:5040
	v_add_nc_u32_e32 v12, 0x2000, v158
	ds_load_2addr_b64 v[132:135], v12 offset0:110 offset1:173
	ds_load_b64 v[152:153], v158 offset:12096
	ds_load_2addr_b64 v[136:139], v136 offset0:120 offset1:183
	ds_load_2addr_b64 v[140:143], v140 offset0:114 offset1:177
	;; [unrolled: 1-line block ×5, first 2 shown]
	v_add_nc_u32_e32 v12, 0x400, v158
	ds_load_2addr_b64 v[163:166], v12 offset0:124 offset1:187
	ds_load_2addr_b64 v[167:170], v167 offset0:122 offset1:185
	;; [unrolled: 1-line block ×3, first 2 shown]
	v_lshrrev_b32_e32 v12, 1, v157
	v_mov_b32_e32 v157, v13
	ds_load_2addr_b64 v[175:178], v175 offset0:118 offset1:181
	ds_load_2addr_b64 v[179:182], v179 offset0:108 offset1:171
	s_mov_b32 s7, 0x3fe2cf23
	v_add_nc_u32_e32 v12, v12, v189
	s_wait_alu 0xfffe
	s_mov_b32 s6, s0
	s_mov_b32 s4, 0x372fe950
	s_mov_b32 s5, 0x3fd3c6ef
	v_lshrrev_b32_e32 v12, 8, v12
	s_delay_alu instid0(VALU_DEP_1) | instskip(NEXT) | instid1(VALU_DEP_1)
	v_mul_u32_u24_e32 v12, 0x4ec, v12
	v_lshlrev_b64_e32 v[12:13], 4, v[12:13]
	s_wait_loadcnt 0x13
	v_mul_f64_e32 v[183:184], v[48:49], v[52:53]
	s_wait_dscnt 0xb
	v_mul_f64_e32 v[52:53], v[134:135], v[52:53]
	s_wait_loadcnt 0x12
	v_mul_f64_e32 v[185:186], v[46:47], v[56:57]
	v_mul_f64_e32 v[56:57], v[132:133], v[56:57]
	s_wait_loadcnt 0x11
	v_mul_f64_e32 v[187:188], v[66:67], v[70:71]
	s_wait_dscnt 0xa
	v_mul_f64_e32 v[70:71], v[152:153], v[70:71]
	s_wait_loadcnt 0x10
	v_mul_f64_e32 v[189:190], v[44:45], v[74:75]
	s_wait_dscnt 0x9
	;; [unrolled: 4-line block ×3, first 2 shown]
	v_mul_f64_e32 v[78:79], v[140:141], v[78:79]
	s_wait_loadcnt 0xe
	v_mul_f64_e32 v[193:194], v[42:43], v[82:83]
	v_mul_f64_e32 v[82:83], v[136:137], v[82:83]
	s_wait_loadcnt 0xd
	v_mul_f64_e32 v[195:196], v[40:41], v[86:87]
	s_wait_dscnt 0x6
	v_mul_f64_e32 v[86:87], v[150:151], v[86:87]
	s_wait_loadcnt 0xc
	v_mul_f64_e32 v[197:198], v[36:37], v[90:91]
	s_wait_dscnt 0x5
	v_mul_f64_e32 v[90:91], v[161:162], v[90:91]
	s_wait_loadcnt 0xb
	v_mul_f64_e32 v[199:200], v[38:39], v[94:95]
	s_wait_loadcnt 0xa
	;; [unrolled: 2-line block ×4, first 2 shown]
	v_mul_f64_e32 v[205:206], v[34:35], v[102:103]
	v_mul_f64_e32 v[94:95], v[148:149], v[94:95]
	s_wait_dscnt 0x2
	v_mul_f64_e32 v[98:99], v[173:174], v[98:99]
	v_mul_f64_e32 v[60:61], v[169:170], v[60:61]
	;; [unrolled: 1-line block ×3, first 2 shown]
	s_wait_loadcnt 0x7
	v_mul_f64_e32 v[207:208], v[20:21], v[106:107]
	s_wait_loadcnt 0x6
	v_mul_f64_e32 v[209:210], v[26:27], v[64:65]
	s_wait_dscnt 0x1
	v_mul_f64_e32 v[106:107], v[177:178], v[106:107]
	v_fma_f64 v[134:135], v[50:51], v[134:135], -v[183:184]
	v_fma_f64 v[48:49], v[48:49], v[50:51], v[52:53]
	s_wait_loadcnt 0x5
	v_mul_f64_e32 v[50:51], v[30:31], v[110:111]
	s_wait_loadcnt 0x4
	v_mul_f64_e32 v[52:53], v[16:17], v[114:115]
	v_fma_f64 v[132:133], v[54:55], v[132:133], -v[185:186]
	v_mul_f64_e32 v[110:111], v[171:172], v[110:111]
	v_fma_f64 v[54:55], v[46:47], v[54:55], v[56:57]
	v_mul_f64_e32 v[56:57], v[167:168], v[64:65]
	s_wait_dscnt 0x0
	v_mul_f64_e32 v[64:65], v[181:182], v[114:115]
	s_wait_loadcnt 0x3
	v_mul_f64_e32 v[114:115], v[18:19], v[118:119]
	s_wait_loadcnt 0x2
	v_mul_f64_e32 v[183:184], v[10:11], v[122:123]
	v_fma_f64 v[152:153], v[68:69], v[152:153], -v[187:188]
	s_wait_loadcnt 0x1
	v_mul_f64_e32 v[185:186], v[24:25], v[126:127]
	v_fma_f64 v[66:67], v[66:67], v[68:69], v[70:71]
	s_wait_loadcnt 0x0
	v_mul_f64_e32 v[68:69], v[14:15], v[130:131]
	v_mul_f64_e32 v[70:71], v[175:176], v[118:119]
	;; [unrolled: 1-line block ×3, first 2 shown]
	v_fma_f64 v[126:127], v[72:73], v[138:139], -v[189:190]
	v_fma_f64 v[72:73], v[44:45], v[72:73], v[74:75]
	v_mul_f64_e32 v[74:75], v[165:166], v[122:123]
	v_mul_f64_e32 v[122:123], v[179:180], v[130:131]
	v_fma_f64 v[130:131], v[76:77], v[140:141], -v[191:192]
	v_fma_f64 v[76:77], v[22:23], v[76:77], v[78:79]
	v_fma_f64 v[78:79], v[80:81], v[136:137], -v[193:194]
	v_fma_f64 v[42:43], v[42:43], v[80:81], v[82:83]
	;; [unrolled: 2-line block ×4, first 2 shown]
	v_fma_f64 v[84:85], v[92:93], v[148:149], -v[199:200]
	v_fma_f64 v[86:87], v[58:59], v[169:170], -v[201:202]
	;; [unrolled: 1-line block ×4, first 2 shown]
	v_fma_f64 v[38:39], v[38:39], v[92:93], v[94:95]
	v_fma_f64 v[32:33], v[32:33], v[96:97], v[98:99]
	v_fma_f64 v[28:29], v[28:29], v[58:59], v[60:61]
	v_fma_f64 v[34:35], v[34:35], v[100:101], v[102:103]
	v_fma_f64 v[58:59], v[104:105], v[177:178], -v[207:208]
	v_fma_f64 v[60:61], v[62:63], v[167:168], -v[209:210]
	v_fma_f64 v[20:21], v[20:21], v[104:105], v[106:107]
	v_fma_f64 v[50:51], v[108:109], v[171:172], -v[50:51]
	v_fma_f64 v[52:53], v[112:113], v[181:182], -v[52:53]
	ds_load_2addr_b64 v[44:47], v158 offset1:63
	v_fma_f64 v[30:31], v[30:31], v[108:109], v[110:111]
	v_lshlrev_b64_e32 v[22:23], 4, v[156:157]
	v_fma_f64 v[26:27], v[26:27], v[62:63], v[56:57]
	v_fma_f64 v[56:57], v[16:17], v[112:113], v[64:65]
	v_fma_f64 v[16:17], v[116:117], v[175:176], -v[114:115]
	v_fma_f64 v[62:63], v[120:121], v[165:166], -v[183:184]
	v_add_f64_e64 v[100:101], v[152:153], -v[134:135]
	v_fma_f64 v[64:65], v[124:125], v[142:143], -v[185:186]
	v_add_f64_e64 v[108:109], v[48:49], -v[66:67]
	v_fma_f64 v[68:69], v[128:129], v[179:180], -v[68:69]
	v_fma_f64 v[18:19], v[18:19], v[116:117], v[70:71]
	v_fma_f64 v[24:25], v[24:25], v[124:125], v[118:119]
	v_add_f64_e32 v[94:95], v[126:127], v[152:153]
	v_add_f64_e32 v[104:105], v[126:127], v[163:164]
	v_fma_f64 v[10:11], v[10:11], v[120:121], v[74:75]
	v_fma_f64 v[70:71], v[14:15], v[128:129], v[122:123]
	v_add_f64_e64 v[14:15], v[130:131], -v[126:127]
	v_add_f64_e64 v[74:75], v[134:135], -v[152:153]
	;; [unrolled: 1-line block ×4, first 2 shown]
	v_add_f64_e32 v[112:113], v[72:73], v[66:67]
	v_add_f64_e64 v[114:115], v[72:73], -v[76:77]
	v_add_f64_e64 v[116:117], v[66:67], -v[48:49]
	v_add_f64_e32 v[118:119], v[76:77], v[48:49]
	v_add_f64_e64 v[122:123], v[80:81], -v[78:79]
	v_add_f64_e64 v[124:125], v[132:133], -v[82:83]
	v_add_f64_e32 v[126:127], v[78:79], v[82:83]
	v_add_f64_e32 v[128:129], v[80:81], v[132:133]
	;; [unrolled: 1-line block ×4, first 2 shown]
	v_add_f64_e64 v[136:137], v[78:79], -v[80:81]
	v_add_f64_e64 v[138:139], v[82:83], -v[132:133]
	;; [unrolled: 1-line block ×3, first 2 shown]
	v_add_f64_e32 v[102:103], v[130:131], v[134:135]
	v_add_f64_e64 v[106:107], v[76:77], -v[72:73]
	v_add_f64_e32 v[72:73], v[8:9], v[72:73]
	v_add_f64_e32 v[140:141], v[42:43], v[36:37]
	;; [unrolled: 1-line block ×8, first 2 shown]
	v_add_f64_e64 v[189:190], v[38:39], -v[28:29]
	v_add_f64_e64 v[191:192], v[32:33], -v[34:35]
	v_add_f64_e32 v[207:208], v[60:61], v[52:53]
	v_add_f64_e32 v[213:214], v[58:59], v[50:51]
	;; [unrolled: 1-line block ×4, first 2 shown]
	v_add_f64_e64 v[150:151], v[40:41], -v[42:43]
	v_add_f64_e64 v[156:157], v[54:55], -v[36:37]
	v_add_f64_e32 v[197:198], v[4:5], v[28:29]
	s_wait_dscnt 0x0
	v_add_f64_e32 v[215:216], v[60:61], v[46:47]
	v_add_f64_e64 v[158:159], v[42:43], -v[40:41]
	v_add_f64_e64 v[160:161], v[36:37], -v[54:55]
	v_add_f64_e32 v[74:75], v[14:15], v[74:75]
	v_add_f64_e32 v[14:15], v[62:63], v[44:45]
	;; [unrolled: 1-line block ×3, first 2 shown]
	v_fma_f64 v[112:113], v[112:113], -0.5, v[8:9]
	v_add_f64_e64 v[92:93], v[76:77], -v[48:49]
	v_add_f64_e32 v[114:115], v[114:115], v[116:117]
	v_fma_f64 v[8:9], v[118:119], -0.5, v[8:9]
	v_add_f64_e32 v[118:119], v[62:63], v[68:69]
	v_add_f64_e32 v[116:117], v[10:11], v[70:71]
	v_fma_f64 v[126:127], v[126:127], -0.5, v[146:147]
	v_fma_f64 v[128:129], v[128:129], -0.5, v[146:147]
	;; [unrolled: 1-line block ×4, first 2 shown]
	v_add_f64_e32 v[173:174], v[16:17], v[64:65]
	v_add_f64_e32 v[122:123], v[122:123], v[124:125]
	;; [unrolled: 1-line block ×5, first 2 shown]
	v_add_f64_e64 v[120:121], v[130:131], -v[134:135]
	v_add_f64_e64 v[42:43], v[42:43], -v[36:37]
	;; [unrolled: 1-line block ×3, first 2 shown]
	v_fma_f64 v[94:95], v[94:95], -0.5, v[163:164]
	v_fma_f64 v[102:103], v[102:103], -0.5, v[163:164]
	v_add_f64_e32 v[98:99], v[98:99], v[100:101]
	v_add_f64_e64 v[100:101], v[18:19], -v[10:11]
	v_add_f64_e32 v[106:107], v[106:107], v[108:109]
	v_add_f64_e64 v[108:109], v[24:25], -v[70:71]
	;; [unrolled: 2-line block ×4, first 2 shown]
	v_fma_f64 v[140:141], v[140:141], -0.5, v[6:7]
	v_fma_f64 v[6:7], v[142:143], -0.5, v[6:7]
	v_add_f64_e64 v[167:168], v[40:41], -v[54:55]
	v_add_f64_e64 v[179:180], v[84:85], -v[86:87]
	;; [unrolled: 1-line block ×9, first 2 shown]
	v_add_f64_e32 v[10:11], v[40:41], v[165:166]
	v_fma_f64 v[142:143], v[175:176], -0.5, v[4:5]
	v_fma_f64 v[4:5], v[177:178], -0.5, v[4:5]
	v_add_f64_e32 v[84:85], v[84:85], v[187:188]
	v_add_f64_e64 v[169:170], v[80:81], -v[132:133]
	v_add_f64_e32 v[80:81], v[80:81], v[148:149]
	v_add_f64_e64 v[199:200], v[38:39], -v[32:33]
	v_add_f64_e64 v[181:182], v[88:89], -v[90:91]
	;; [unrolled: 1-line block ×9, first 2 shown]
	v_add_f64_e32 v[175:176], v[189:190], v[191:192]
	v_fma_f64 v[187:188], v[207:208], -0.5, v[46:47]
	v_fma_f64 v[46:47], v[213:214], -0.5, v[46:47]
	;; [unrolled: 1-line block ×4, first 2 shown]
	v_add_f64_e64 v[162:163], v[16:17], -v[62:63]
	v_add_f64_e64 v[235:236], v[62:63], -v[16:17]
	;; [unrolled: 1-line block ×4, first 2 shown]
	v_fma_f64 v[118:119], v[118:119], -0.5, v[44:45]
	v_fma_f64 v[44:45], v[173:174], -0.5, v[44:45]
	v_add_f64_e32 v[14:15], v[16:17], v[14:15]
	v_fma_f64 v[16:17], v[116:117], -0.5, v[0:1]
	v_fma_f64 v[0:1], v[124:125], -0.5, v[0:1]
	v_add_f64_e64 v[231:232], v[20:21], -v[30:31]
	v_add_f64_e32 v[150:151], v[150:151], v[156:157]
	v_add_f64_e64 v[156:157], v[58:59], -v[50:51]
	v_add_f64_e32 v[38:39], v[38:39], v[197:198]
	v_add_f64_e32 v[58:59], v[58:59], v[215:216]
	v_add_f64_e64 v[211:212], v[52:53], -v[50:51]
	v_add_f64_e32 v[158:159], v[158:159], v[160:161]
	v_add_f64_e64 v[160:161], v[18:19], -v[24:25]
	v_add_f64_e32 v[20:21], v[20:21], v[229:230]
	v_add_f64_e32 v[18:19], v[18:19], v[138:139]
	;; [unrolled: 1-line block ×4, first 2 shown]
	v_fma_f64 v[76:77], v[92:93], s[2:3], v[94:95]
	v_fma_f64 v[94:95], v[92:93], s[10:11], v[94:95]
	;; [unrolled: 1-line block ×4, first 2 shown]
	v_add_f64_e32 v[104:105], v[134:135], v[104:105]
	v_fma_f64 v[124:125], v[120:121], s[10:11], v[112:113]
	v_fma_f64 v[112:113], v[120:121], s[2:3], v[112:113]
	;; [unrolled: 1-line block ×7, first 2 shown]
	v_add_f64_e64 v[185:186], v[90:91], -v[88:89]
	v_add_f64_e32 v[177:178], v[193:194], v[195:196]
	v_add_f64_e32 v[48:49], v[72:73], v[48:49]
	v_fma_f64 v[72:73], v[167:168], s[2:3], v[126:127]
	v_fma_f64 v[126:127], v[167:168], s[10:11], v[126:127]
	v_add_f64_e32 v[10:11], v[10:11], v[54:55]
	v_fma_f64 v[191:192], v[28:29], s[10:11], v[144:145]
	v_fma_f64 v[144:145], v[28:29], s[2:3], v[144:145]
	v_add_f64_e32 v[84:85], v[88:89], v[84:85]
	v_fma_f64 v[195:196], v[86:87], s[10:11], v[4:5]
	v_add_f64_e32 v[80:81], v[132:133], v[80:81]
	v_fma_f64 v[132:133], v[169:170], s[10:11], v[140:141]
	v_fma_f64 v[138:139], v[169:170], s[2:3], v[140:141]
	;; [unrolled: 1-line block ×8, first 2 shown]
	v_add_f64_e64 v[225:226], v[56:57], -v[30:31]
	v_add_f64_e32 v[148:149], v[179:180], v[181:182]
	v_add_f64_e32 v[179:180], v[203:204], v[205:206]
	v_fma_f64 v[197:198], v[26:27], s[10:11], v[46:47]
	v_fma_f64 v[46:47], v[26:27], s[2:3], v[46:47]
	;; [unrolled: 1-line block ×3, first 2 shown]
	v_add_f64_e64 v[171:172], v[68:69], -v[64:65]
	v_fma_f64 v[207:208], v[237:238], s[10:11], v[44:45]
	v_fma_f64 v[44:45], v[237:238], s[2:3], v[44:45]
	;; [unrolled: 1-line block ×3, first 2 shown]
	v_add_f64_e64 v[219:220], v[30:31], -v[56:57]
	v_add_f64_e32 v[32:33], v[38:39], v[32:33]
	v_fma_f64 v[38:39], v[231:232], s[2:3], v[187:188]
	v_fma_f64 v[187:188], v[231:232], s[10:11], v[187:188]
	v_add_f64_e32 v[50:51], v[50:51], v[58:59]
	v_fma_f64 v[58:59], v[156:157], s[10:11], v[189:190]
	v_fma_f64 v[189:190], v[156:157], s[2:3], v[189:190]
	v_add_f64_e64 v[233:234], v[64:65], -v[68:69]
	v_add_f64_e32 v[181:182], v[209:210], v[211:212]
	v_add_f64_e32 v[20:21], v[20:21], v[30:31]
	v_fma_f64 v[30:31], v[160:161], s[2:3], v[118:119]
	v_fma_f64 v[118:119], v[160:161], s[10:11], v[118:119]
	;; [unrolled: 1-line block ×4, first 2 shown]
	v_add_f64_e32 v[18:19], v[18:19], v[24:25]
	v_fma_f64 v[24:25], v[40:41], s[10:11], v[16:17]
	v_fma_f64 v[211:212], v[62:63], s[2:3], v[0:1]
	v_add_f64_e32 v[64:65], v[64:65], v[14:15]
	v_fma_f64 v[76:77], v[96:97], s[0:1], v[76:77]
	s_wait_alu 0xfffe
	v_fma_f64 v[94:95], v[96:97], s[6:7], v[94:95]
	v_fma_f64 v[96:97], v[92:93], s[0:1], v[116:117]
	;; [unrolled: 1-line block ×3, first 2 shown]
	v_add_f64_e32 v[2:3], v[152:153], v[104:105]
	v_fma_f64 v[104:105], v[110:111], s[6:7], v[124:125]
	v_fma_f64 v[110:111], v[110:111], s[0:1], v[112:113]
	;; [unrolled: 1-line block ×6, first 2 shown]
	v_add_f64_e32 v[164:165], v[183:184], v[185:186]
	v_add_f64_e32 v[0:1], v[48:49], v[66:67]
	v_fma_f64 v[66:67], v[42:43], s[6:7], v[126:127]
	v_add_f64_e32 v[4:5], v[10:11], v[36:37]
	v_fma_f64 v[126:127], v[199:200], s[6:7], v[144:145]
	;; [unrolled: 2-line block ×4, first 2 shown]
	v_fma_f64 v[78:79], v[78:79], s[0:1], v[138:139]
	v_fma_f64 v[36:37], v[28:29], s[0:1], v[54:55]
	;; [unrolled: 1-line block ×10, first 2 shown]
	v_add_f64_e32 v[185:186], v[223:224], v[225:226]
	v_fma_f64 v[132:133], v[231:232], s[6:7], v[46:47]
	v_fma_f64 v[142:143], v[156:157], s[0:1], v[205:206]
	v_add_f64_e32 v[171:172], v[235:236], v[171:172]
	v_fma_f64 v[144:145], v[160:161], s[6:7], v[44:45]
	v_fma_f64 v[146:147], v[40:41], s[0:1], v[213:214]
	;; [unrolled: 3-line block ×5, first 2 shown]
	v_fma_f64 v[140:141], v[156:157], s[6:7], v[203:204]
	v_fma_f64 v[156:157], v[237:238], s[0:1], v[30:31]
	;; [unrolled: 1-line block ×6, first 2 shown]
	v_add_f64_e32 v[16:17], v[52:53], v[50:51]
	v_add_f64_e32 v[14:15], v[20:21], v[56:57]
	;; [unrolled: 1-line block ×4, first 2 shown]
	v_fma_f64 v[54:55], v[136:137], s[4:5], v[102:103]
	v_fma_f64 v[52:53], v[158:159], s[4:5], v[120:121]
	v_fma_f64 v[70:71], v[164:165], s[4:5], v[126:127]
	v_fma_f64 v[68:69], v[177:178], s[4:5], v[90:91]
	v_fma_f64 v[46:47], v[122:123], s[4:5], v[66:67]
	v_fma_f64 v[44:45], v[150:151], s[4:5], v[78:79]
	v_fma_f64 v[62:63], v[148:149], s[4:5], v[28:29]
	v_fma_f64 v[60:61], v[175:176], s[4:5], v[86:87]
	v_fma_f64 v[42:43], v[122:123], s[4:5], v[48:49]
	v_fma_f64 v[40:41], v[150:151], s[4:5], v[80:81]
	v_fma_f64 v[58:59], v[148:149], s[4:5], v[36:37]
	v_fma_f64 v[56:57], v[175:176], s[4:5], v[84:85]
	v_fma_f64 v[50:51], v[136:137], s[4:5], v[72:73]
	v_fma_f64 v[48:49], v[158:159], s[4:5], v[82:83]
	v_fma_f64 v[66:67], v[164:165], s[4:5], v[124:125]
	v_fma_f64 v[64:65], v[177:178], s[4:5], v[88:89]
	v_fma_f64 v[86:87], v[181:182], s[4:5], v[132:133]
	v_fma_f64 v[84:85], v[185:186], s[4:5], v[142:143]
	v_fma_f64 v[90:91], v[171:172], s[4:5], v[144:145]
	v_fma_f64 v[88:89], v[108:109], s[4:5], v[146:147]
	v_fma_f64 v[26:27], v[74:75], s[4:5], v[76:77]
	v_fma_f64 v[78:79], v[179:180], s[4:5], v[128:129]
	v_fma_f64 v[76:77], v[183:184], s[4:5], v[138:139]
	v_fma_f64 v[30:31], v[74:75], s[4:5], v[94:95]
	v_fma_f64 v[38:39], v[98:99], s[4:5], v[92:93]
	v_fma_f64 v[94:95], v[162:163], s[4:5], v[118:119]
	v_fma_f64 v[92:93], v[100:101], s[4:5], v[152:153]
	v_fma_f64 v[74:75], v[179:180], s[4:5], v[32:33]
	v_fma_f64 v[72:73], v[183:184], s[4:5], v[134:135]
	v_fma_f64 v[34:35], v[98:99], s[4:5], v[96:97]
	v_fma_f64 v[98:99], v[162:163], s[4:5], v[156:157]
	v_fma_f64 v[96:97], v[100:101], s[4:5], v[24:25]
	v_fma_f64 v[82:83], v[181:182], s[4:5], v[130:131]
	v_fma_f64 v[80:81], v[185:186], s[4:5], v[140:141]
	v_fma_f64 v[102:103], v[171:172], s[4:5], v[160:161]
	v_fma_f64 v[100:101], v[108:109], s[4:5], v[166:167]
	v_fma_f64 v[36:37], v[114:115], s[4:5], v[116:117]
	v_fma_f64 v[28:29], v[106:107], s[4:5], v[110:111]
	v_fma_f64 v[24:25], v[106:107], s[4:5], v[104:105]
	v_fma_f64 v[32:33], v[114:115], s[4:5], v[112:113]
	v_add_co_u32 v104, vcc_lo, s8, v154
	s_wait_alu 0xfffd
	v_add_co_ci_u32_e32 v105, vcc_lo, s9, v155, vcc_lo
	s_delay_alu instid0(VALU_DEP_2) | instskip(SKIP_1) | instid1(VALU_DEP_2)
	v_add_co_u32 v22, vcc_lo, v104, v22
	s_wait_alu 0xfffd
	v_add_co_ci_u32_e32 v23, vcc_lo, v105, v23, vcc_lo
	s_delay_alu instid0(VALU_DEP_2) | instskip(SKIP_1) | instid1(VALU_DEP_2)
	v_add_co_u32 v12, vcc_lo, v22, v12
	s_wait_alu 0xfffd
	v_add_co_ci_u32_e32 v13, vcc_lo, v23, v13, vcc_lo
	s_clause 0x18
	global_store_b128 v[22:23], v[4:7], off offset:3024
	global_store_b128 v[22:23], v[8:11], off offset:2016
	;; [unrolled: 1-line block ×3, first 2 shown]
	global_store_b128 v[22:23], v[18:21], off
	global_store_b128 v[22:23], v[52:55], off offset:8064
	global_store_b128 v[22:23], v[68:71], off offset:7056
	;; [unrolled: 1-line block ×21, first 2 shown]
.LBB0_35:
	s_nop 0
	s_sendmsg sendmsg(MSG_DEALLOC_VGPRS)
	s_endpgm
	.section	.rodata,"a",@progbits
	.p2align	6, 0x0
	.amdhsa_kernel fft_rtc_back_len1575_factors_3_3_5_7_5_wgs_63_tpt_63_halfLds_dp_ip_CI_unitstride_sbrr_dirReg
		.amdhsa_group_segment_fixed_size 0
		.amdhsa_private_segment_fixed_size 0
		.amdhsa_kernarg_size 88
		.amdhsa_user_sgpr_count 2
		.amdhsa_user_sgpr_dispatch_ptr 0
		.amdhsa_user_sgpr_queue_ptr 0
		.amdhsa_user_sgpr_kernarg_segment_ptr 1
		.amdhsa_user_sgpr_dispatch_id 0
		.amdhsa_user_sgpr_private_segment_size 0
		.amdhsa_wavefront_size32 1
		.amdhsa_uses_dynamic_stack 0
		.amdhsa_enable_private_segment 0
		.amdhsa_system_sgpr_workgroup_id_x 1
		.amdhsa_system_sgpr_workgroup_id_y 0
		.amdhsa_system_sgpr_workgroup_id_z 0
		.amdhsa_system_sgpr_workgroup_info 0
		.amdhsa_system_vgpr_workitem_id 0
		.amdhsa_next_free_vgpr 243
		.amdhsa_next_free_sgpr 32
		.amdhsa_reserve_vcc 1
		.amdhsa_float_round_mode_32 0
		.amdhsa_float_round_mode_16_64 0
		.amdhsa_float_denorm_mode_32 3
		.amdhsa_float_denorm_mode_16_64 3
		.amdhsa_fp16_overflow 0
		.amdhsa_workgroup_processor_mode 1
		.amdhsa_memory_ordered 1
		.amdhsa_forward_progress 0
		.amdhsa_round_robin_scheduling 0
		.amdhsa_exception_fp_ieee_invalid_op 0
		.amdhsa_exception_fp_denorm_src 0
		.amdhsa_exception_fp_ieee_div_zero 0
		.amdhsa_exception_fp_ieee_overflow 0
		.amdhsa_exception_fp_ieee_underflow 0
		.amdhsa_exception_fp_ieee_inexact 0
		.amdhsa_exception_int_div_zero 0
	.end_amdhsa_kernel
	.text
.Lfunc_end0:
	.size	fft_rtc_back_len1575_factors_3_3_5_7_5_wgs_63_tpt_63_halfLds_dp_ip_CI_unitstride_sbrr_dirReg, .Lfunc_end0-fft_rtc_back_len1575_factors_3_3_5_7_5_wgs_63_tpt_63_halfLds_dp_ip_CI_unitstride_sbrr_dirReg
                                        ; -- End function
	.section	.AMDGPU.csdata,"",@progbits
; Kernel info:
; codeLenInByte = 18340
; NumSgprs: 34
; NumVgprs: 243
; ScratchSize: 0
; MemoryBound: 1
; FloatMode: 240
; IeeeMode: 1
; LDSByteSize: 0 bytes/workgroup (compile time only)
; SGPRBlocks: 4
; VGPRBlocks: 30
; NumSGPRsForWavesPerEU: 34
; NumVGPRsForWavesPerEU: 243
; Occupancy: 5
; WaveLimiterHint : 1
; COMPUTE_PGM_RSRC2:SCRATCH_EN: 0
; COMPUTE_PGM_RSRC2:USER_SGPR: 2
; COMPUTE_PGM_RSRC2:TRAP_HANDLER: 0
; COMPUTE_PGM_RSRC2:TGID_X_EN: 1
; COMPUTE_PGM_RSRC2:TGID_Y_EN: 0
; COMPUTE_PGM_RSRC2:TGID_Z_EN: 0
; COMPUTE_PGM_RSRC2:TIDIG_COMP_CNT: 0
	.text
	.p2alignl 7, 3214868480
	.fill 96, 4, 3214868480
	.type	__hip_cuid_4611a024450d15cf,@object ; @__hip_cuid_4611a024450d15cf
	.section	.bss,"aw",@nobits
	.globl	__hip_cuid_4611a024450d15cf
__hip_cuid_4611a024450d15cf:
	.byte	0                               ; 0x0
	.size	__hip_cuid_4611a024450d15cf, 1

	.ident	"AMD clang version 19.0.0git (https://github.com/RadeonOpenCompute/llvm-project roc-6.4.0 25133 c7fe45cf4b819c5991fe208aaa96edf142730f1d)"
	.section	".note.GNU-stack","",@progbits
	.addrsig
	.addrsig_sym __hip_cuid_4611a024450d15cf
	.amdgpu_metadata
---
amdhsa.kernels:
  - .args:
      - .actual_access:  read_only
        .address_space:  global
        .offset:         0
        .size:           8
        .value_kind:     global_buffer
      - .offset:         8
        .size:           8
        .value_kind:     by_value
      - .actual_access:  read_only
        .address_space:  global
        .offset:         16
        .size:           8
        .value_kind:     global_buffer
      - .actual_access:  read_only
        .address_space:  global
        .offset:         24
        .size:           8
        .value_kind:     global_buffer
      - .offset:         32
        .size:           8
        .value_kind:     by_value
      - .actual_access:  read_only
        .address_space:  global
        .offset:         40
        .size:           8
        .value_kind:     global_buffer
      - .actual_access:  read_only
        .address_space:  global
        .offset:         48
        .size:           8
        .value_kind:     global_buffer
      - .offset:         56
        .size:           4
        .value_kind:     by_value
      - .actual_access:  read_only
        .address_space:  global
        .offset:         64
        .size:           8
        .value_kind:     global_buffer
      - .actual_access:  read_only
        .address_space:  global
        .offset:         72
        .size:           8
        .value_kind:     global_buffer
      - .address_space:  global
        .offset:         80
        .size:           8
        .value_kind:     global_buffer
    .group_segment_fixed_size: 0
    .kernarg_segment_align: 8
    .kernarg_segment_size: 88
    .language:       OpenCL C
    .language_version:
      - 2
      - 0
    .max_flat_workgroup_size: 63
    .name:           fft_rtc_back_len1575_factors_3_3_5_7_5_wgs_63_tpt_63_halfLds_dp_ip_CI_unitstride_sbrr_dirReg
    .private_segment_fixed_size: 0
    .sgpr_count:     34
    .sgpr_spill_count: 0
    .symbol:         fft_rtc_back_len1575_factors_3_3_5_7_5_wgs_63_tpt_63_halfLds_dp_ip_CI_unitstride_sbrr_dirReg.kd
    .uniform_work_group_size: 1
    .uses_dynamic_stack: false
    .vgpr_count:     243
    .vgpr_spill_count: 0
    .wavefront_size: 32
    .workgroup_processor_mode: 1
amdhsa.target:   amdgcn-amd-amdhsa--gfx1201
amdhsa.version:
  - 1
  - 2
...

	.end_amdgpu_metadata
